;; amdgpu-corpus repo=ROCm/rocFFT kind=compiled arch=gfx950 opt=O3
	.text
	.amdgcn_target "amdgcn-amd-amdhsa--gfx950"
	.amdhsa_code_object_version 6
	.protected	bluestein_single_back_len1456_dim1_half_op_CI_CI ; -- Begin function bluestein_single_back_len1456_dim1_half_op_CI_CI
	.globl	bluestein_single_back_len1456_dim1_half_op_CI_CI
	.p2align	8
	.type	bluestein_single_back_len1456_dim1_half_op_CI_CI,@function
bluestein_single_back_len1456_dim1_half_op_CI_CI: ; @bluestein_single_back_len1456_dim1_half_op_CI_CI
; %bb.0:
	s_load_dwordx4 s[4:7], s[0:1], 0x28
	v_mul_u32_u24_e32 v1, 0x169, v0
	v_add_u32_sdwa v18, s2, v1 dst_sel:DWORD dst_unused:UNUSED_PAD src0_sel:DWORD src1_sel:WORD_1
	v_mov_b32_e32 v19, 0
	s_waitcnt lgkmcnt(0)
	v_cmp_gt_u64_e32 vcc, s[4:5], v[18:19]
	s_and_saveexec_b64 s[2:3], vcc
	s_cbranch_execz .LBB0_23
; %bb.1:
	s_load_dwordx2 s[12:13], s[0:1], 0x0
	s_load_dwordx2 s[14:15], s[0:1], 0x38
	s_movk_i32 s2, 0xb6
	v_mul_lo_u16_sdwa v1, v1, s2 dst_sel:DWORD dst_unused:UNUSED_PAD src0_sel:WORD_1 src1_sel:DWORD
	v_sub_u16_e32 v19, v0, v1
	s_movk_i32 s2, 0x70
	v_cmp_gt_u16_e64 s[4:5], s2, v19
	v_lshlrev_b32_e32 v16, 2, v19
	s_and_saveexec_b64 s[2:3], s[4:5]
	s_cbranch_execz .LBB0_3
; %bb.2:
	s_load_dwordx2 s[8:9], s[0:1], 0x18
	v_mov_b32_e32 v0, s6
	v_mov_b32_e32 v1, s7
	;; [unrolled: 1-line block ×4, first 2 shown]
	s_waitcnt lgkmcnt(0)
	s_load_dwordx4 s[8:11], s[8:9], 0x0
	v_mov_b32_e32 v25, 0x380
	s_waitcnt lgkmcnt(0)
	v_mad_u64_u32 v[2:3], s[6:7], s10, v18, 0
	v_mad_u64_u32 v[4:5], s[6:7], s8, v19, 0
	v_mov_b32_e32 v6, v3
	v_mov_b32_e32 v8, v5
	v_mad_u64_u32 v[6:7], s[6:7], s11, v18, v[6:7]
	v_mov_b32_e32 v3, v6
	v_mad_u64_u32 v[6:7], s[6:7], s9, v19, v[8:9]
	v_mov_b32_e32 v5, v6
	v_lshl_add_u64 v[0:1], v[2:3], 2, v[0:1]
	v_lshl_add_u64 v[2:3], v[4:5], 2, v[0:1]
	global_load_dword v10, v[2:3], off
	global_load_dword v11, v16, s[12:13]
	v_mad_u64_u32 v[2:3], s[6:7], s8, v12, v[2:3]
	s_mul_i32 s10, s9, 0x1c0
	v_add_u32_e32 v3, s10, v3
	global_load_dword v13, v[2:3], off
	global_load_dword v14, v16, s[12:13] offset:448
	v_mad_u64_u32 v[2:3], s[6:7], s8, v12, v[2:3]
	v_add_u32_e32 v3, s10, v3
	global_load_dword v15, v[2:3], off
	global_load_dword v20, v16, s[12:13] offset:896
	v_mad_u64_u32 v[2:3], s[6:7], s8, v12, v[2:3]
	;; [unrolled: 4-line block ×4, first 2 shown]
	v_add_u32_e32 v3, s10, v3
	global_load_dword v26, v[2:3], off
	global_load_dword v27, v16, s[12:13] offset:2240
	global_load_dword v28, v16, s[12:13] offset:2688
	;; [unrolled: 1-line block ×5, first 2 shown]
	v_mad_u64_u32 v[2:3], s[6:7], s8, v12, v[2:3]
	v_add_u32_e32 v3, s10, v3
	global_load_dword v32, v[2:3], off
	v_or_b32_e32 v9, 0x380, v19
	v_mad_u64_u32 v[2:3], s[6:7], s8, v12, v[2:3]
	v_add_u32_e32 v3, s10, v3
	v_mad_u64_u32 v[6:7], s[6:7], s8, v9, 0
	v_lshl_add_u64 v[4:5], s[12:13], 0, v[16:17]
	global_load_dword v17, v[2:3], off
	v_mov_b32_e32 v8, v7
	v_mad_u64_u32 v[8:9], s[6:7], s9, v9, v[8:9]
	v_mov_b32_e32 v7, v8
	v_lshl_add_u64 v[0:1], v[6:7], 2, v[0:1]
	global_load_dword v6, v[0:1], off
	s_mulk_i32 s9, 0x380
	v_mad_u64_u32 v[0:1], s[6:7], s8, v25, v[2:3]
	v_add_u32_e32 v1, s9, v1
	global_load_dword v7, v[0:1], off
	s_movk_i32 s11, 0x1000
	v_mad_u64_u32 v[0:1], s[6:7], s8, v12, v[0:1]
	v_add_co_u32_e32 v2, vcc, s11, v4
	v_add_u32_e32 v1, s10, v1
	s_nop 0
	v_addc_co_u32_e32 v3, vcc, 0, v5, vcc
	global_load_dword v4, v[0:1], off
	global_load_dword v5, v[2:3], off offset:384
	global_load_dword v8, v[2:3], off offset:832
	;; [unrolled: 1-line block ×3, first 2 shown]
	v_mad_u64_u32 v[0:1], s[6:7], s8, v12, v[0:1]
	v_add_u32_e32 v1, s10, v1
	global_load_dword v2, v[0:1], off
	v_mad_u64_u32 v[0:1], s[6:7], s8, v12, v[0:1]
	v_add_u32_e32 v1, s10, v1
	global_load_dword v0, v[0:1], off
	s_waitcnt vmcnt(25)
	v_lshrrev_b32_e32 v3, 16, v10
	s_waitcnt vmcnt(24)
	v_mul_f16_sdwa v12, v11, v10 dst_sel:DWORD dst_unused:UNUSED_PAD src0_sel:WORD_1 src1_sel:DWORD
	v_mul_f16_sdwa v25, v11, v3 dst_sel:DWORD dst_unused:UNUSED_PAD src0_sel:WORD_1 src1_sel:DWORD
	v_fma_f16 v10, v11, v10, v25
	v_fma_f16 v1, v11, v3, -v12
	s_waitcnt vmcnt(23)
	v_lshrrev_b32_e32 v3, 16, v13
	v_pack_b32_f16 v1, v10, v1
	s_waitcnt vmcnt(22)
	v_mul_f16_sdwa v10, v14, v3 dst_sel:DWORD dst_unused:UNUSED_PAD src0_sel:WORD_1 src1_sel:DWORD
	v_mul_f16_sdwa v11, v14, v13 dst_sel:DWORD dst_unused:UNUSED_PAD src0_sel:WORD_1 src1_sel:DWORD
	v_fma_f16 v10, v14, v13, v10
	v_fma_f16 v3, v14, v3, -v11
	v_pack_b32_f16 v3, v10, v3
	ds_write2_b32 v16, v1, v3 offset1:112
	s_waitcnt vmcnt(21)
	v_lshrrev_b32_e32 v1, 16, v15
	s_waitcnt vmcnt(20)
	v_mul_f16_sdwa v3, v20, v1 dst_sel:DWORD dst_unused:UNUSED_PAD src0_sel:WORD_1 src1_sel:DWORD
	v_mul_f16_sdwa v10, v20, v15 dst_sel:DWORD dst_unused:UNUSED_PAD src0_sel:WORD_1 src1_sel:DWORD
	v_fma_f16 v3, v20, v15, v3
	v_fma_f16 v1, v20, v1, -v10
	v_pack_b32_f16 v1, v3, v1
	s_waitcnt vmcnt(19)
	v_lshrrev_b32_e32 v3, 16, v21
	s_waitcnt vmcnt(18)
	v_mul_f16_sdwa v10, v22, v3 dst_sel:DWORD dst_unused:UNUSED_PAD src0_sel:WORD_1 src1_sel:DWORD
	v_mul_f16_sdwa v11, v22, v21 dst_sel:DWORD dst_unused:UNUSED_PAD src0_sel:WORD_1 src1_sel:DWORD
	v_fma_f16 v10, v22, v21, v10
	v_fma_f16 v3, v22, v3, -v11
	v_pack_b32_f16 v3, v10, v3
	v_add_u32_e32 v10, 0x200, v16
	ds_write2_b32 v10, v1, v3 offset0:96 offset1:208
	s_waitcnt vmcnt(17)
	v_lshrrev_b32_e32 v1, 16, v24
	s_waitcnt vmcnt(16)
	v_mul_f16_sdwa v3, v23, v1 dst_sel:DWORD dst_unused:UNUSED_PAD src0_sel:WORD_1 src1_sel:DWORD
	v_mul_f16_sdwa v10, v23, v24 dst_sel:DWORD dst_unused:UNUSED_PAD src0_sel:WORD_1 src1_sel:DWORD
	v_fma_f16 v3, v23, v24, v3
	v_fma_f16 v1, v23, v1, -v10
	v_pack_b32_f16 v1, v3, v1
	s_waitcnt vmcnt(15)
	v_lshrrev_b32_e32 v3, 16, v26
	s_waitcnt vmcnt(14)
	v_mul_f16_sdwa v10, v27, v3 dst_sel:DWORD dst_unused:UNUSED_PAD src0_sel:WORD_1 src1_sel:DWORD
	v_mul_f16_sdwa v11, v27, v26 dst_sel:DWORD dst_unused:UNUSED_PAD src0_sel:WORD_1 src1_sel:DWORD
	v_fma_f16 v10, v27, v26, v10
	v_fma_f16 v3, v27, v3, -v11
	v_pack_b32_f16 v3, v10, v3
	v_add_u32_e32 v10, 0x600, v16
	ds_write2_b32 v10, v1, v3 offset0:64 offset1:176
	s_waitcnt vmcnt(9)
	v_lshrrev_b32_e32 v1, 16, v32
	v_mul_f16_sdwa v3, v28, v1 dst_sel:DWORD dst_unused:UNUSED_PAD src0_sel:WORD_1 src1_sel:DWORD
	v_mul_f16_sdwa v10, v28, v32 dst_sel:DWORD dst_unused:UNUSED_PAD src0_sel:WORD_1 src1_sel:DWORD
	v_fma_f16 v3, v28, v32, v3
	v_fma_f16 v1, v28, v1, -v10
	v_pack_b32_f16 v1, v3, v1
	s_waitcnt vmcnt(8)
	v_lshrrev_b32_e32 v3, 16, v17
	v_mul_f16_sdwa v10, v29, v3 dst_sel:DWORD dst_unused:UNUSED_PAD src0_sel:WORD_1 src1_sel:DWORD
	v_mul_f16_sdwa v11, v29, v17 dst_sel:DWORD dst_unused:UNUSED_PAD src0_sel:WORD_1 src1_sel:DWORD
	v_fma_f16 v10, v29, v17, v10
	v_fma_f16 v3, v29, v3, -v11
	v_pack_b32_f16 v3, v10, v3
	v_add_u32_e32 v10, 0xa00, v16
	ds_write2_b32 v10, v1, v3 offset0:32 offset1:144
	s_waitcnt vmcnt(7)
	v_lshrrev_b32_e32 v1, 16, v6
	v_mul_f16_sdwa v3, v30, v1 dst_sel:DWORD dst_unused:UNUSED_PAD src0_sel:WORD_1 src1_sel:DWORD
	v_fma_f16 v3, v30, v6, v3
	v_mul_f16_sdwa v6, v30, v6 dst_sel:DWORD dst_unused:UNUSED_PAD src0_sel:WORD_1 src1_sel:DWORD
	v_fma_f16 v1, v30, v1, -v6
	v_pack_b32_f16 v1, v3, v1
	s_waitcnt vmcnt(6)
	v_lshrrev_b32_e32 v3, 16, v7
	v_mul_f16_sdwa v6, v31, v3 dst_sel:DWORD dst_unused:UNUSED_PAD src0_sel:WORD_1 src1_sel:DWORD
	v_fma_f16 v6, v31, v7, v6
	v_mul_f16_sdwa v7, v31, v7 dst_sel:DWORD dst_unused:UNUSED_PAD src0_sel:WORD_1 src1_sel:DWORD
	v_fma_f16 v3, v31, v3, -v7
	v_pack_b32_f16 v3, v6, v3
	v_add_u32_e32 v6, 0xc00, v16
	ds_write2_b32 v6, v1, v3 offset0:128 offset1:240
	s_waitcnt vmcnt(5)
	v_lshrrev_b32_e32 v1, 16, v4
	s_waitcnt vmcnt(4)
	v_mul_f16_sdwa v3, v5, v1 dst_sel:DWORD dst_unused:UNUSED_PAD src0_sel:WORD_1 src1_sel:DWORD
	v_fma_f16 v3, v5, v4, v3
	v_mul_f16_sdwa v4, v5, v4 dst_sel:DWORD dst_unused:UNUSED_PAD src0_sel:WORD_1 src1_sel:DWORD
	v_fma_f16 v1, v5, v1, -v4
	v_pack_b32_f16 v1, v3, v1
	s_waitcnt vmcnt(1)
	v_lshrrev_b32_e32 v3, 16, v2
	v_mul_f16_sdwa v4, v8, v3 dst_sel:DWORD dst_unused:UNUSED_PAD src0_sel:WORD_1 src1_sel:DWORD
	v_fma_f16 v4, v8, v2, v4
	v_mul_f16_sdwa v2, v8, v2 dst_sel:DWORD dst_unused:UNUSED_PAD src0_sel:WORD_1 src1_sel:DWORD
	v_fma_f16 v2, v8, v3, -v2
	v_pack_b32_f16 v2, v4, v2
	v_add_u32_e32 v3, 0x1000, v16
	ds_write2_b32 v3, v1, v2 offset0:96 offset1:208
	s_waitcnt vmcnt(0)
	v_lshrrev_b32_e32 v1, 16, v0
	v_mul_f16_sdwa v2, v9, v1 dst_sel:DWORD dst_unused:UNUSED_PAD src0_sel:WORD_1 src1_sel:DWORD
	v_fma_f16 v2, v9, v0, v2
	v_mul_f16_sdwa v0, v9, v0 dst_sel:DWORD dst_unused:UNUSED_PAD src0_sel:WORD_1 src1_sel:DWORD
	v_fma_f16 v0, v9, v1, -v0
	v_pack_b32_f16 v0, v2, v0
	ds_write_b32 v16, v0 offset:5376
.LBB0_3:
	s_or_b64 exec, exec, s[2:3]
	s_load_dwordx2 s[2:3], s[0:1], 0x20
	s_load_dwordx2 s[6:7], s[0:1], 0x8
	v_mov_b32_e32 v0, 0
	s_waitcnt lgkmcnt(0)
	s_barrier
	s_waitcnt lgkmcnt(0)
                                        ; implicit-def: $vgpr10
                                        ; implicit-def: $vgpr22
                                        ; implicit-def: $vgpr32
                                        ; implicit-def: $vgpr23
                                        ; implicit-def: $vgpr30
                                        ; implicit-def: $vgpr9
                                        ; implicit-def: $vgpr31
                                        ; implicit-def: $vgpr33
                                        ; implicit-def: $vgpr5
                                        ; implicit-def: $vgpr26
                                        ; implicit-def: $vgpr12
                                        ; implicit-def: $vgpr3
                                        ; implicit-def: $vgpr13
                                        ; implicit-def: $vgpr17
                                        ; implicit-def: $vgpr7
                                        ; implicit-def: $vgpr20
                                        ; implicit-def: $vgpr21
                                        ; implicit-def: $vgpr14
	s_and_saveexec_b64 s[0:1], s[4:5]
	s_cbranch_execz .LBB0_5
; %bb.4:
	v_add_u32_e32 v2, 0x200, v16
	v_add_u32_e32 v3, 0x600, v16
	;; [unrolled: 1-line block ×5, first 2 shown]
	ds_read2_b32 v[0:1], v16 offset1:112
	ds_read2_b32 v[6:7], v2 offset0:96 offset1:208
	ds_read2_b32 v[2:3], v3 offset0:64 offset1:176
	ds_read2_b32 v[4:5], v4 offset0:32 offset1:144
	ds_read2_b32 v[8:9], v8 offset0:128 offset1:240
	ds_read2_b32 v[10:11], v10 offset0:96 offset1:208
	ds_read_b32 v32, v16 offset:5376
	s_waitcnt lgkmcnt(6)
	v_lshrrev_b32_e32 v14, 16, v1
	s_waitcnt lgkmcnt(5)
	v_lshrrev_b32_e32 v21, 16, v6
	v_lshrrev_b32_e32 v20, 16, v7
	s_waitcnt lgkmcnt(4)
	v_lshrrev_b32_e32 v17, 16, v2
	;; [unrolled: 3-line block ×6, first 2 shown]
.LBB0_5:
	s_or_b64 exec, exec, s[0:1]
	v_sub_f16_e32 v59, v14, v23
	v_add_f16_e32 v52, v32, v1
	s_movk_i32 s8, 0x3b15
	v_mul_f16_e32 v34, 0xb770, v59
	v_sub_f16_e32 v67, v21, v30
	v_fma_f16 v15, v52, s8, v34
	s_movk_i32 s9, 0x388b
	v_mul_f16_e32 v35, 0xba95, v59
	v_add_f16_e32 v55, v11, v6
	v_mul_f16_e32 v40, 0xba95, v67
	v_add_f16_e32 v15, v15, v0
	v_fma_f16 v24, v52, s9, v35
	s_movk_i32 s10, 0x2fb7
	v_mul_f16_e32 v41, 0xbbf1, v59
	s_mov_b32 s11, 0xb5ac
	v_fma_f16 v28, v55, s9, v40
	v_mul_f16_e32 v43, 0xbb7b, v67
	v_add_f16_e32 v24, v24, v0
	v_fma_f16 v25, v52, s10, v41
	v_mul_f16_e32 v46, 0xbb7b, v59
	v_add_f16_e32 v15, v28, v15
	v_fma_f16 v28, v55, s11, v43
	s_mov_b32 s17, 0xbbc4
	v_mul_f16_e32 v45, 0xb3a8, v67
	v_add_f16_e32 v25, v25, v0
	v_fma_f16 v27, v52, s11, v46
	s_mov_b32 s16, 0xb9fd
	v_add_f16_e32 v24, v28, v24
	v_fma_f16 v28, v55, s17, v45
	v_mul_f16_e32 v49, 0x394e, v67
	v_sub_f16_e32 v76, v20, v22
	v_add_f16_e32 v27, v27, v0
	v_add_f16_e32 v28, v28, v25
	v_fma_f16 v25, v55, s16, v49
	v_add_f16_e32 v56, v10, v7
	v_mul_f16_e32 v44, 0xbbf1, v76
	v_add_f16_e32 v27, v25, v27
	v_fma_f16 v25, v56, s10, v44
	v_mul_f16_e32 v47, 0xb3a8, v76
	v_sub_f16_e32 v82, v17, v31
	v_add_f16_e32 v15, v25, v15
	v_fma_f16 v25, v56, s17, v47
	v_add_f16_e32 v58, v9, v2
	v_mul_f16_e32 v48, 0xbb7b, v82
	v_add_f16_e32 v24, v25, v24
	v_fma_f16 v25, v58, s11, v48
	v_mul_f16_e32 v50, 0x394e, v82
	v_sub_f16_e32 v88, v13, v33
	v_add_f16_e32 v15, v25, v15
	v_fma_f16 v25, v58, s16, v50
	v_add_f16_e32 v60, v8, v3
	v_mul_f16_e32 v51, 0xb94e, v88
	v_add_f16_e32 v24, v25, v24
	v_fma_f16 v25, v60, s16, v51
	v_mul_f16_e32 v53, 0x3bf1, v88
	v_sub_f16_e32 v97, v12, v26
	v_add_f16_e32 v15, v25, v15
	v_fma_f16 v25, v60, s10, v53
	v_add_f16_e32 v66, v5, v4
	v_mul_f16_e32 v54, 0xb3a8, v97
	v_add_f16_e32 v24, v25, v24
	v_fma_f16 v25, v66, s17, v54
	v_mul_f16_e32 v57, 0x3770, v97
	v_add_f16_e32 v25, v25, v15
	v_fma_f16 v15, v66, s8, v57
	;; [unrolled: 3-line block ×9, first 2 shown]
	v_mul_f16_e32 v75, 0x3a95, v97
	v_sub_f16_e32 v111, v1, v32
	v_add_f16_e32 v29, v28, v15
	v_fma_f16 v15, v66, s9, v75
	v_add_f16_e32 v103, v23, v14
	v_mul_f16_e32 v62, 0xb770, v111
	v_sub_f16_e32 v112, v6, v11
	v_add_f16_e32 v28, v15, v27
	v_fma_f16 v15, v103, s8, -v62
	v_add_f16_e32 v93, v30, v21
	v_mul_f16_e32 v63, 0xba95, v112
	v_add_f16_sdwa v15, v15, v0 dst_sel:DWORD dst_unused:UNUSED_PAD src0_sel:DWORD src1_sel:WORD_1
	v_fma_f16 v27, v93, s9, -v63
	v_mul_f16_e32 v71, 0xba95, v111
	v_add_f16_e32 v15, v27, v15
	v_fma_f16 v27, v103, s9, -v71
	v_mul_f16_e32 v72, 0xbb7b, v112
	v_add_f16_sdwa v27, v27, v0 dst_sel:DWORD dst_unused:UNUSED_PAD src0_sel:DWORD src1_sel:WORD_1
	v_fma_f16 v36, v93, s11, -v72
	v_mul_f16_e32 v78, 0xbbf1, v111
	v_add_f16_e32 v27, v36, v27
	v_fma_f16 v36, v103, s10, -v78
	;; [unrolled: 6-line block ×3, first 2 shown]
	v_mul_f16_e32 v90, 0x394e, v112
	v_add_f16_sdwa v37, v37, v0 dst_sel:DWORD dst_unused:UNUSED_PAD src0_sel:DWORD src1_sel:WORD_1
	v_fma_f16 v38, v93, s16, -v90
	v_mul_f16_e32 v99, 0xb94e, v59
	v_add_f16_e32 v37, v38, v37
	v_fma_f16 v38, v52, s16, v99
	v_mul_f16_e32 v100, 0x3bf1, v67
	v_add_f16_e32 v38, v38, v0
	v_fma_f16 v39, v55, s10, v100
	v_mul_f16_e32 v107, 0xb94e, v111
	v_add_f16_e32 v38, v39, v38
	v_fma_f16 v39, v103, s16, -v107
	v_mul_f16_e32 v108, 0x3bf1, v112
	v_sub_f16_e32 v116, v7, v10
	v_add_f16_sdwa v39, v39, v0 dst_sel:DWORD dst_unused:UNUSED_PAD src0_sel:DWORD src1_sel:WORD_1
	v_fma_f16 v42, v93, s10, -v108
	v_add_f16_e32 v95, v22, v20
	v_mul_f16_e32 v74, 0xbbf1, v116
	v_add_f16_e32 v39, v42, v39
	v_fma_f16 v42, v95, s10, -v74
	v_mul_f16_e32 v80, 0xb3a8, v116
	v_add_f16_e32 v15, v42, v15
	v_fma_f16 v42, v95, s17, -v80
	v_mul_f16_e32 v84, 0x3b7b, v116
	v_add_f16_e32 v27, v42, v27
	v_fma_f16 v42, v95, s11, -v84
	v_mul_f16_e32 v94, 0x3770, v116
	v_add_f16_e32 v36, v42, v36
	v_fma_f16 v42, v95, s8, -v94
	v_mul_f16_e32 v105, 0xba95, v76
	v_add_f16_e32 v37, v42, v37
	v_fma_f16 v42, v56, s9, v105
	v_mul_f16_e32 v113, 0xba95, v116
	v_sub_f16_e32 v119, v2, v9
	v_add_f16_e32 v38, v42, v38
	v_fma_f16 v42, v95, s9, -v113
	v_add_f16_e32 v96, v31, v17
	v_mul_f16_e32 v77, 0xbb7b, v119
	v_add_f16_e32 v39, v42, v39
	v_fma_f16 v42, v96, s11, -v77
	v_mul_f16_e32 v83, 0x394e, v119
	v_add_f16_e32 v15, v42, v15
	v_fma_f16 v42, v96, s16, -v83
	v_mul_f16_e32 v87, 0x3770, v119
	v_add_f16_e32 v27, v42, v27
	v_fma_f16 v42, v96, s8, -v87
	v_mul_f16_e32 v102, 0xbbf1, v119
	v_add_f16_e32 v36, v42, v36
	v_fma_f16 v42, v96, s10, -v102
	v_mul_f16_e32 v109, 0x33a8, v82
	v_add_f16_e32 v37, v42, v37
	v_fma_f16 v42, v58, s17, v109
	v_mul_f16_e32 v115, 0x33a8, v119
	v_sub_f16_e32 v121, v3, v8
	v_add_f16_e32 v38, v42, v38
	;; [unrolled: 20-line block ×3, first 2 shown]
	v_fma_f16 v36, v101, s8, -v117
	v_add_f16_e32 v104, v26, v12
	v_mul_f16_e32 v85, 0xb3a8, v122
	v_add_f16_e32 v124, v36, v39
	v_fma_f16 v36, v104, s17, -v85
	v_mul_f16_e32 v91, 0x3770, v122
	v_add_f16_e32 v36, v36, v15
	v_fma_f16 v15, v104, s8, -v91
	;; [unrolled: 3-line block ×5, first 2 shown]
	v_mul_f16_e32 v118, 0xbb7b, v97
	v_add_f16_e32 v42, v15, v124
	v_fma_f16 v15, v66, s11, v118
	s_mov_b32 s27, 0xb770
	s_mov_b32 s25, 0xba95
	;; [unrolled: 1-line block ×6, first 2 shown]
	s_movk_i32 s28, 0x394e
	s_movk_i32 s19, 0x3bf1
	;; [unrolled: 1-line block ×6, first 2 shown]
	v_add_f16_e32 v27, v15, v123
	v_mul_lo_u16_e32 v15, 13, v19
	s_barrier
	s_and_saveexec_b64 s[0:1], s[4:5]
	s_cbranch_execz .LBB0_7
; %bb.6:
	v_mul_f16_e32 v123, 0xbbc4, v103
	v_fma_f16 v124, v111, s29, v123
	v_mul_f16_e32 v125, 0x3b15, v93
	v_add_f16_sdwa v124, v124, v0 dst_sel:DWORD dst_unused:UNUSED_PAD src0_sel:DWORD src1_sel:WORD_1
	v_fma_f16 v126, v112, s27, v125
	v_add_f16_e32 v124, v126, v124
	v_mul_f16_e32 v126, 0xb9fd, v95
	v_fma_f16 v127, v116, s28, v126
	v_add_f16_e32 v124, v127, v124
	v_mul_f16_e32 v127, 0x388b, v96
	;; [unrolled: 3-line block ×3, first 2 shown]
	v_fma_f16 v129, v121, s26, v128
	v_fma_f16 v111, v111, s22, v123
	v_add_f16_e32 v124, v129, v124
	v_mul_f16_e32 v129, 0x2fb7, v104
	v_fma_f16 v112, v112, s23, v125
	v_add_f16_sdwa v111, v111, v0 dst_sel:DWORD dst_unused:UNUSED_PAD src0_sel:DWORD src1_sel:WORD_1
	v_fma_f16 v130, v122, s24, v129
	v_mul_f16_e32 v59, 0xb3a8, v59
	v_add_f16_e32 v111, v112, v111
	v_fma_f16 v112, v116, s20, v126
	v_add_f16_e32 v124, v130, v124
	v_fma_f16 v130, v52, s17, v59
	v_mul_f16_e32 v67, 0x3770, v67
	v_add_f16_e32 v111, v112, v111
	v_fma_f16 v112, v119, s21, v127
	v_fma_f16 v59, v52, s17, -v59
	v_add_f16_e32 v130, v130, v0
	v_fma_f16 v131, v55, s8, v67
	v_mul_f16_e32 v76, 0xb94e, v76
	v_add_f16_e32 v111, v112, v111
	v_fma_f16 v119, v121, s18, v128
	v_add_f16_e32 v59, v59, v0
	v_fma_f16 v67, v55, s8, -v67
	v_add_f16_e32 v130, v131, v130
	v_fma_f16 v131, v56, s16, v76
	v_add_f16_e32 v111, v119, v111
	v_fma_f16 v122, v122, s19, v129
	v_add_f16_e32 v59, v67, v59
	v_fma_f16 v76, v56, s16, -v76
	v_mul_f16_e32 v112, 0x3b15, v103
	v_mul_f16_e32 v119, 0x388b, v103
	v_add_f16_e32 v111, v122, v111
	v_mul_f16_e32 v122, 0x2fb7, v103
	v_add_f16_e32 v59, v76, v59
	v_mul_f16_e32 v76, 0xb5ac, v103
	v_mul_f16_e32 v103, 0xb9fd, v103
	v_add_f16_e32 v103, v107, v103
	v_mul_f16_e32 v107, 0x2fb7, v93
	v_add_f16_e32 v107, v108, v107
	v_add_f16_sdwa v103, v103, v0 dst_sel:DWORD dst_unused:UNUSED_PAD src0_sel:DWORD src1_sel:WORD_1
	v_add_f16_e32 v103, v107, v103
	v_mul_f16_e32 v107, 0x388b, v95
	v_mul_f16_e32 v82, 0x3a95, v82
	v_add_f16_e32 v107, v113, v107
	v_add_f16_e32 v130, v131, v130
	v_fma_f16 v131, v58, s9, v82
	v_mul_f16_e32 v88, 0xbb7b, v88
	v_fma_f16 v82, v58, s9, -v82
	v_add_f16_e32 v103, v107, v103
	v_mul_f16_e32 v107, 0xbbc4, v96
	v_add_f16_e32 v130, v131, v130
	v_fma_f16 v131, v60, s11, v88
	v_mul_f16_e32 v97, 0x3bf1, v97
	v_add_f16_e32 v59, v82, v59
	v_fma_f16 v88, v60, s11, -v88
	v_add_f16_e32 v107, v115, v107
	v_add_f16_e32 v130, v131, v130
	v_fma_f16 v131, v66, s10, v97
	v_mul_f16_e32 v116, 0x3b15, v52
	v_mul_f16_e32 v121, 0x388b, v52
	;; [unrolled: 1-line block ×5, first 2 shown]
	v_add_f16_e32 v59, v88, v59
	v_fma_f16 v97, v66, s10, -v97
	v_add_f16_e32 v103, v107, v103
	v_mul_f16_e32 v107, 0x3b15, v101
	v_mul_f16_e32 v82, 0x388b, v55
	v_add_f16_e32 v59, v97, v59
	v_mul_f16_e32 v97, 0xb5ac, v55
	v_mul_f16_e32 v113, 0xbbc4, v55
	;; [unrolled: 3-line block ×3, first 2 shown]
	v_sub_f16_e32 v52, v52, v99
	v_sub_f16_e32 v55, v55, v100
	v_add_f16_e32 v52, v52, v0
	v_add_f16_e32 v52, v55, v52
	v_mul_f16_e32 v55, 0x388b, v56
	v_sub_f16_e32 v55, v55, v105
	v_add_f16_e32 v52, v55, v52
	v_mul_f16_e32 v55, 0xbbc4, v58
	v_sub_f16_e32 v55, v55, v109
	v_add_f16_e32 v103, v107, v103
	v_mul_f16_e32 v107, 0xb5ac, v104
	v_add_f16_e32 v52, v55, v52
	v_mul_f16_e32 v55, 0x3b15, v60
	v_mul_f16_e32 v88, 0x388b, v93
	;; [unrolled: 1-line block ×5, first 2 shown]
	v_add_f16_e32 v107, v120, v107
	v_sub_f16_e32 v55, v55, v114
	v_add_f16_e32 v76, v89, v76
	v_add_f16_e32 v103, v107, v103
	v_mul_f16_e32 v107, 0x2fb7, v95
	v_mul_f16_e32 v100, 0xbbc4, v95
	;; [unrolled: 1-line block ×4, first 2 shown]
	v_add_f16_e32 v52, v55, v52
	v_mul_f16_e32 v55, 0xb5ac, v66
	v_add_f16_e32 v90, v90, v93
	v_add_f16_sdwa v76, v76, v0 dst_sel:DWORD dst_unused:UNUSED_PAD src0_sel:DWORD src1_sel:WORD_1
	v_sub_f16_e32 v55, v55, v118
	v_mul_f16_e32 v118, 0xb5ac, v96
	v_mul_f16_e32 v89, 0xb9fd, v96
	v_add_f16_e32 v76, v90, v76
	v_mul_f16_e32 v90, 0x3b15, v96
	v_mul_f16_e32 v96, 0x2fb7, v96
	v_add_f16_e32 v94, v94, v95
	v_add_f16_e32 v76, v94, v76
	v_add_f16_e32 v96, v102, v96
	v_add_f16_e32 v76, v96, v76
	v_mul_f16_e32 v96, 0xbbc4, v101
	v_sub_f16_e32 v46, v67, v46
	v_sub_f16_e32 v41, v123, v41
	;; [unrolled: 1-line block ×3, first 2 shown]
	v_mul_f16_e32 v120, 0x2fb7, v56
	v_mul_f16_e32 v99, 0xbbc4, v56
	;; [unrolled: 1-line block ×4, first 2 shown]
	v_add_f16_e32 v96, v106, v96
	v_sub_f16_e32 v49, v117, v49
	v_add_f16_e32 v46, v46, v0
	v_add_f16_e32 v41, v41, v0
	v_sub_f16_e32 v45, v113, v45
	v_add_f16_e32 v35, v35, v0
	v_sub_f16_e32 v43, v97, v43
	v_mul_f16_e32 v114, 0xb5ac, v58
	v_add_f16_e32 v52, v55, v52
	v_mul_f16_e32 v55, 0xb9fd, v58
	v_mul_f16_e32 v93, 0x3b15, v58
	;; [unrolled: 1-line block ×3, first 2 shown]
	v_add_f16_e32 v76, v96, v76
	v_mul_f16_e32 v96, 0x388b, v104
	v_add_f16_e32 v46, v49, v46
	v_sub_f16_e32 v56, v56, v69
	v_add_f16_e32 v41, v45, v41
	v_sub_f16_e32 v45, v105, v61
	v_add_f16_e32 v35, v43, v35
	v_sub_f16_e32 v43, v99, v47
	v_mul_f16_e32 v95, 0xb9fd, v60
	v_mul_f16_e32 v102, 0x2fb7, v60
	v_add_f16_e32 v96, v110, v96
	v_mul_f16_e32 v110, 0x388b, v60
	v_mul_f16_e32 v60, 0xbbc4, v60
	v_add_f16_e32 v46, v56, v46
	v_sub_f16_e32 v56, v58, v70
	v_add_f16_e32 v41, v45, v41
	v_sub_f16_e32 v45, v93, v64
	;; [unrolled: 2-line block ×3, first 2 shown]
	v_add_f16_e32 v76, v96, v76
	v_mul_f16_e32 v96, 0xbbc4, v66
	v_mul_f16_e32 v117, 0x3b15, v66
	;; [unrolled: 1-line block ×4, first 2 shown]
	v_add_f16_e32 v46, v56, v46
	v_sub_f16_e32 v56, v60, v73
	v_add_f16_e32 v41, v45, v41
	v_sub_f16_e32 v45, v110, v65
	;; [unrolled: 2-line block ×6, first 2 shown]
	v_add_f16_e32 v46, v56, v46
	v_add_f16_e32 v56, v78, v122
	;; [unrolled: 1-line block ×6, first 2 shown]
	v_sub_f16_e32 v34, v116, v34
	v_add_f16_sdwa v56, v56, v0 dst_sel:DWORD dst_unused:UNUSED_PAD src0_sel:DWORD src1_sel:WORD_1
	v_add_f16_sdwa v45, v45, v0 dst_sel:DWORD dst_unused:UNUSED_PAD src0_sel:DWORD src1_sel:WORD_1
	;; [unrolled: 1-line block ×3, first 2 shown]
	v_add_f16_e32 v34, v34, v0
	v_add_f16_e32 v1, v1, v0
	v_add_f16_sdwa v0, v14, v0 dst_sel:DWORD dst_unused:UNUSED_PAD src0_sel:DWORD src1_sel:WORD_1
	v_add_f16_e32 v1, v6, v1
	v_add_f16_e32 v0, v21, v0
	;; [unrolled: 1-line block ×9, first 2 shown]
	v_mul_f16_e32 v94, 0xb9fd, v101
	v_mul_f16_e32 v106, 0x2fb7, v101
	;; [unrolled: 1-line block ×3, first 2 shown]
	v_add_f16_e32 v56, v58, v56
	v_add_f16_e32 v58, v87, v90
	;; [unrolled: 1-line block ×4, first 2 shown]
	v_mul_f16_e32 v67, 0xbbc4, v104
	v_mul_f16_e32 v49, 0x3b15, v104
	v_mul_f16_e32 v104, 0xb9fd, v104
	v_add_f16_e32 v56, v58, v56
	v_add_f16_e32 v58, v92, v101
	v_add_f16_e32 v1, v4, v1
	v_add_f16_e32 v0, v12, v0
	v_add_f16_e32 v56, v58, v56
	v_add_f16_e32 v58, v98, v104
	v_add_f16_e32 v47, v63, v88
	v_sub_f16_e32 v40, v82, v40
	v_add_f16_e32 v1, v5, v1
	v_add_f16_e32 v0, v26, v0
	v_add_f16_e32 v56, v58, v56
	v_add_f16_e32 v58, v72, v108
	v_add_f16_e32 v43, v47, v43
	v_add_f16_e32 v47, v74, v107
	v_add_f16_e32 v34, v40, v34
	v_sub_f16_e32 v40, v120, v44
	;; [unrolled: 8-line block ×5, first 2 shown]
	v_add_f16_e32 v1, v11, v1
	v_add_f16_e32 v0, v30, v0
	;; [unrolled: 1-line block ×9, first 2 shown]
	v_lshlrev_b32_e32 v2, 2, v15
	v_pack_b32_f16 v3, v34, v43
	v_pack_b32_f16 v0, v1, v0
	ds_write2_b32 v2, v0, v3 offset1:1
	v_pack_b32_f16 v0, v41, v56
	v_pack_b32_f16 v1, v35, v45
	v_add_f16_e32 v130, v131, v130
	ds_write2_b32 v2, v1, v0 offset0:2 offset1:3
	v_pack_b32_f16 v0, v52, v103
	v_pack_b32_f16 v1, v46, v76
	ds_write2_b32 v2, v1, v0 offset0:4 offset1:5
	v_pack_b32_f16 v0, v130, v124
	v_pack_b32_f16 v1, v59, v111
	s_mov_b32 s8, 0x5040100
	ds_write2_b32 v2, v1, v0 offset0:6 offset1:7
	v_perm_b32 v0, v39, v28, s8
	v_perm_b32 v1, v42, v27, s8
	ds_write2_b32 v2, v1, v0 offset0:8 offset1:9
	v_perm_b32 v0, v37, v24, s8
	v_perm_b32 v1, v38, v29, s8
	ds_write2_b32 v2, v1, v0 offset0:10 offset1:11
	v_perm_b32 v0, v36, v25, s8
	ds_write_b32 v2, v0 offset:48
.LBB0_7:
	s_or_b64 exec, exec, s[0:1]
	s_movk_i32 s0, 0x4f
	v_mul_lo_u16_sdwa v4, v19, s0 dst_sel:DWORD dst_unused:UNUSED_PAD src0_sel:BYTE_0 src1_sel:DWORD
	v_lshrrev_b16_e32 v5, 10, v4
	v_mul_lo_u16_e32 v0, 13, v5
	v_sub_u16_e32 v0, v19, v0
	v_add_u16_e32 v2, 0xb6, v19
	v_and_b32_e32 v17, 0xff, v0
	v_mul_u32_u24_e32 v3, 0x4ec5, v2
	v_mad_u64_u32 v[0:1], s[0:1], v17, 12, s[6:7]
	v_lshrrev_b32_e32 v32, 18, v3
	s_load_dwordx4 s[8:11], s[2:3], 0x0
	s_waitcnt lgkmcnt(0)
	s_barrier
	global_load_dwordx3 v[12:14], v[0:1], off
	v_mul_lo_u16_e32 v0, 13, v32
	v_sub_u16_e32 v33, v2, v0
	v_mul_lo_u16_e32 v0, 12, v33
	v_mov_b32_e32 v1, 0
	v_lshl_add_u64 v[6:7], s[6:7], 0, v[0:1]
	global_load_dwordx3 v[8:10], v[6:7], off
	v_add_u32_e32 v0, 0x500, v16
	ds_read2_b32 v[6:7], v16 offset1:182
	v_add_u32_e32 v11, 0xb00, v16
	v_add_u32_e32 v26, 0x1000, v16
	ds_read2_b32 v[20:21], v0 offset0:44 offset1:226
	ds_read2_b32 v[22:23], v11 offset0:24 offset1:206
	;; [unrolled: 1-line block ×3, first 2 shown]
	v_mul_u32_u24_e32 v5, 52, v5
	s_waitcnt lgkmcnt(3)
	v_lshrrev_b32_e32 v0, 16, v6
	s_waitcnt lgkmcnt(2)
	v_lshrrev_b32_e32 v26, 16, v20
	;; [unrolled: 2-line block ×4, first 2 shown]
	v_lshrrev_b32_e32 v40, 16, v21
	v_lshrrev_b32_e32 v43, 16, v31
	;; [unrolled: 1-line block ×4, first 2 shown]
	s_barrier
	v_cmp_gt_u16_e64 s[2:3], 26, v19
	s_waitcnt vmcnt(1)
	v_mul_f16_sdwa v44, v26, v12 dst_sel:DWORD dst_unused:UNUSED_PAD src0_sel:DWORD src1_sel:WORD_1
	v_mul_f16_sdwa v45, v20, v12 dst_sel:DWORD dst_unused:UNUSED_PAD src0_sel:DWORD src1_sel:WORD_1
	;; [unrolled: 1-line block ×6, first 2 shown]
	s_waitcnt vmcnt(0)
	v_mul_f16_sdwa v50, v40, v8 dst_sel:DWORD dst_unused:UNUSED_PAD src0_sel:DWORD src1_sel:WORD_1
	v_mul_f16_sdwa v53, v23, v9 dst_sel:DWORD dst_unused:UNUSED_PAD src0_sel:DWORD src1_sel:WORD_1
	v_mul_f16_sdwa v54, v43, v10 dst_sel:DWORD dst_unused:UNUSED_PAD src0_sel:DWORD src1_sel:WORD_1
	v_fma_f16 v20, v20, v12, -v44
	v_fma_f16 v26, v26, v12, v45
	v_fma_f16 v22, v22, v13, -v46
	v_fma_f16 v34, v34, v13, v47
	;; [unrolled: 2-line block ×3, first 2 shown]
	v_mul_f16_sdwa v51, v21, v8 dst_sel:DWORD dst_unused:UNUSED_PAD src0_sel:DWORD src1_sel:WORD_1
	v_mul_f16_sdwa v52, v41, v9 dst_sel:DWORD dst_unused:UNUSED_PAD src0_sel:DWORD src1_sel:WORD_1
	;; [unrolled: 1-line block ×3, first 2 shown]
	v_fma_f16 v21, v21, v8, -v50
	v_fma_f16 v41, v41, v9, v53
	v_fma_f16 v31, v31, v10, -v54
	v_sub_f16_e32 v22, v6, v22
	v_sub_f16_e32 v34, v0, v34
	;; [unrolled: 1-line block ×4, first 2 shown]
	v_fma_f16 v40, v40, v8, v51
	v_fma_f16 v43, v43, v10, v55
	v_sub_f16_e32 v41, v11, v41
	v_sub_f16_e32 v31, v21, v31
	v_fma_f16 v6, v6, 2.0, -v22
	v_fma_f16 v0, v0, 2.0, -v34
	;; [unrolled: 1-line block ×4, first 2 shown]
	v_fma_f16 v23, v23, v9, -v52
	v_sub_f16_e32 v43, v40, v43
	v_sub_f16_e32 v35, v22, v35
	v_add_f16_e32 v30, v34, v30
	v_fma_f16 v45, v11, 2.0, -v41
	v_fma_f16 v21, v21, 2.0, -v31
	v_add_f16_e32 v11, v41, v31
	v_sub_f16_e32 v20, v6, v20
	v_sub_f16_e32 v31, v0, v44
	v_sub_f16_e32 v23, v7, v23
	v_fma_f16 v40, v40, 2.0, -v43
	v_fma_f16 v22, v22, 2.0, -v35
	;; [unrolled: 1-line block ×6, first 2 shown]
	v_sub_f16_e32 v26, v23, v43
	v_sub_f16_e32 v43, v45, v40
	v_add_lshl_u32 v40, v5, v17, 2
	v_pack_b32_f16 v0, v6, v0
	v_pack_b32_f16 v5, v22, v34
	v_sub_f16_e32 v21, v7, v21
	ds_write2_b32 v40, v0, v5 offset1:13
	v_pack_b32_f16 v0, v20, v31
	v_pack_b32_f16 v5, v35, v30
	v_fma_f16 v23, v23, 2.0, -v26
	v_fma_f16 v44, v41, 2.0, -v11
	;; [unrolled: 1-line block ×4, first 2 shown]
	ds_write2_b32 v40, v0, v5 offset0:26 offset1:39
	v_mad_legacy_u16 v0, v32, 52, v33
	v_lshlrev_b32_e32 v41, 2, v0
	v_pack_b32_f16 v0, v7, v45
	v_pack_b32_f16 v5, v23, v44
	ds_write2_b32 v41, v0, v5 offset1:13
	v_pack_b32_f16 v0, v21, v43
	v_pack_b32_f16 v5, v26, v11
	ds_write2_b32 v41, v0, v5 offset0:26 offset1:39
	v_add_u32_e32 v0, 0x600, v16
	s_waitcnt lgkmcnt(0)
	s_barrier
	ds_read2_b32 v[32:33], v0 offset0:32 offset1:240
	v_add_u32_e32 v0, 0xd00, v16
	ds_read2_b32 v[30:31], v16 offset1:208
	ds_read2_b32 v[34:35], v0 offset1:208
	ds_read_b32 v17, v16 offset:4992
                                        ; implicit-def: $vgpr43
                                        ; implicit-def: $vgpr44
	s_and_saveexec_b64 s[0:1], s[2:3]
	s_cbranch_execz .LBB0_9
; %bb.8:
	v_add_u32_e32 v0, 0x280, v16
	ds_read2_b32 v[26:27], v0 offset0:22 offset1:230
	v_add_u32_e32 v0, 0x900, v16
	v_add_u32_e32 v5, 0xf80, v16
	ds_read2_b32 v[28:29], v0 offset0:22 offset1:230
	ds_read2_b32 v[24:25], v5 offset0:22 offset1:230
	ds_read_b32 v43, v16 offset:5720
	s_waitcnt lgkmcnt(3)
	v_lshrrev_b32_e32 v11, 16, v26
	v_lshrrev_b32_e32 v42, 16, v27
	s_waitcnt lgkmcnt(2)
	v_lshrrev_b32_e32 v39, 16, v28
	v_lshrrev_b32_e32 v38, 16, v29
	;; [unrolled: 3-line block ×3, first 2 shown]
	s_waitcnt lgkmcnt(0)
	v_lshrrev_b32_e32 v44, 16, v43
.LBB0_9:
	s_or_b64 exec, exec, s[0:1]
	v_lshrrev_b16_e32 v45, 12, v4
	v_mul_lo_u16_e32 v0, 52, v45
	v_sub_u16_e32 v0, v19, v0
	v_and_b32_e32 v48, 0xff, v0
	v_mad_u64_u32 v[20:21], s[0:1], v48, 24, s[6:7]
	global_load_dwordx4 v[4:7], v[20:21], off offset:156
	global_load_dwordx2 v[22:23], v[20:21], off offset:172
	v_lshrrev_b32_e32 v0, 20, v3
	v_mul_lo_u16_e32 v0, 52, v0
	v_sub_u16_e32 v58, v2, v0
	v_mul_lo_u16_e32 v0, 24, v58
	v_lshl_add_u64 v[46:47], s[6:7], 0, v[0:1]
	global_load_dwordx4 v[0:3], v[46:47], off offset:156
	global_load_dwordx2 v[20:21], v[46:47], off offset:172
	s_waitcnt lgkmcnt(2)
	v_lshrrev_b32_e32 v46, 16, v31
	v_lshrrev_b32_e32 v47, 16, v32
	s_waitcnt lgkmcnt(1)
	v_lshrrev_b32_e32 v51, 16, v35
	s_waitcnt lgkmcnt(0)
	v_lshrrev_b32_e32 v52, 16, v17
	v_lshrrev_b32_e32 v49, 16, v33
	;; [unrolled: 1-line block ×3, first 2 shown]
	s_movk_i32 s0, 0x2b26
	s_movk_i32 s1, 0x3b00
	s_mov_b32 s16, 0xbcab
	s_movk_i32 s17, 0x39e0
	s_mov_b32 s18, 0xb9e0
	;; [unrolled: 2-line block ×3, first 2 shown]
	s_movk_i32 s21, 0x370e
	s_barrier
	s_waitcnt vmcnt(3)
	v_mul_f16_sdwa v53, v46, v4 dst_sel:DWORD dst_unused:UNUSED_PAD src0_sel:DWORD src1_sel:WORD_1
	v_mul_f16_sdwa v54, v31, v4 dst_sel:DWORD dst_unused:UNUSED_PAD src0_sel:DWORD src1_sel:WORD_1
	;; [unrolled: 1-line block ×4, first 2 shown]
	s_waitcnt vmcnt(2)
	v_mul_f16_sdwa v62, v51, v22 dst_sel:DWORD dst_unused:UNUSED_PAD src0_sel:DWORD src1_sel:WORD_1
	v_mul_f16_sdwa v63, v35, v22 dst_sel:DWORD dst_unused:UNUSED_PAD src0_sel:DWORD src1_sel:WORD_1
	;; [unrolled: 1-line block ×8, first 2 shown]
	v_fma_f16 v31, v31, v4, -v53
	v_fma_f16 v46, v46, v4, v54
	v_fma_f16 v32, v32, v5, -v55
	v_fma_f16 v47, v47, v5, v56
	v_fma_f16 v35, v35, v22, -v62
	v_fma_f16 v51, v51, v22, v63
	v_fma_f16 v17, v17, v23, -v64
	v_fma_f16 v52, v52, v23, v65
	v_fma_f16 v33, v33, v6, -v57
	v_fma_f16 v49, v49, v6, v59
	v_fma_f16 v34, v34, v7, -v60
	v_fma_f16 v50, v50, v7, v61
	v_add_f16_e32 v53, v31, v17
	v_add_f16_e32 v54, v46, v52
	v_sub_f16_e32 v17, v31, v17
	v_sub_f16_e32 v31, v46, v52
	v_add_f16_e32 v46, v32, v35
	v_add_f16_e32 v52, v47, v51
	v_sub_f16_e32 v32, v32, v35
	v_sub_f16_e32 v35, v47, v51
	;; [unrolled: 4-line block ×4, first 2 shown]
	v_sub_f16_e32 v53, v53, v47
	v_sub_f16_e32 v54, v54, v51
	;; [unrolled: 1-line block ×4, first 2 shown]
	v_add_f16_e32 v57, v33, v32
	v_add_f16_e32 v59, v34, v35
	v_sub_f16_e32 v60, v33, v32
	v_sub_f16_e32 v61, v34, v35
	;; [unrolled: 1-line block ×4, first 2 shown]
	v_add_f16_e32 v47, v47, v49
	v_add_f16_e32 v49, v51, v50
	v_sub_f16_e32 v33, v17, v33
	v_sub_f16_e32 v34, v31, v34
	v_add_f16_e32 v17, v57, v17
	v_add_f16_e32 v31, v59, v31
	;; [unrolled: 1-line block ×3, first 2 shown]
	v_add_f16_sdwa v30, v30, v49 dst_sel:DWORD dst_unused:UNUSED_PAD src0_sel:WORD_1 src1_sel:DWORD
	v_mul_f16_e32 v50, 0x3a52, v53
	v_mul_f16_e32 v51, 0x3a52, v54
	v_mul_f16_e32 v53, 0x2b26, v46
	v_mul_f16_e32 v54, 0x2b26, v52
	v_mul_f16_e32 v57, 0xb846, v60
	v_mul_f16_e32 v60, 0xb846, v61
	v_mul_f16_e32 v61, 0x3b00, v32
	v_mul_f16_e32 v62, 0x3b00, v35
	s_waitcnt vmcnt(1)
	v_mul_f16_sdwa v66, v42, v0 dst_sel:DWORD dst_unused:UNUSED_PAD src0_sel:DWORD src1_sel:WORD_1
	v_mul_f16_sdwa v68, v39, v1 dst_sel:DWORD dst_unused:UNUSED_PAD src0_sel:DWORD src1_sel:WORD_1
	s_waitcnt vmcnt(0)
	v_mul_f16_sdwa v74, v36, v20 dst_sel:DWORD dst_unused:UNUSED_PAD src0_sel:DWORD src1_sel:WORD_1
	v_mul_f16_sdwa v76, v44, v21 dst_sel:DWORD dst_unused:UNUSED_PAD src0_sel:DWORD src1_sel:WORD_1
	v_fma_f16 v47, v47, s16, v59
	v_fma_f16 v49, v49, s16, v30
	;; [unrolled: 1-line block ×4, first 2 shown]
	v_fma_f16 v53, v55, s17, -v53
	v_fma_f16 v54, v56, s17, -v54
	;; [unrolled: 1-line block ×4, first 2 shown]
	v_fma_f16 v55, v33, s19, v57
	v_fma_f16 v56, v34, s19, v60
	v_fma_f16 v32, v32, s1, -v57
	v_fma_f16 v35, v35, s1, -v60
	;; [unrolled: 1-line block ×4, first 2 shown]
	v_mul_f16_sdwa v67, v27, v0 dst_sel:DWORD dst_unused:UNUSED_PAD src0_sel:DWORD src1_sel:WORD_1
	v_mul_f16_sdwa v69, v28, v1 dst_sel:DWORD dst_unused:UNUSED_PAD src0_sel:DWORD src1_sel:WORD_1
	;; [unrolled: 1-line block ×8, first 2 shown]
	v_fma_f16 v27, v27, v0, -v66
	v_fma_f16 v28, v28, v1, -v68
	;; [unrolled: 1-line block ×4, first 2 shown]
	v_add_f16_e32 v46, v46, v47
	v_add_f16_e32 v52, v52, v49
	;; [unrolled: 1-line block ×6, first 2 shown]
	v_fma_f16 v50, v17, s21, v55
	v_fma_f16 v51, v31, s21, v56
	;; [unrolled: 1-line block ×8, first 2 shown]
	v_fma_f16 v29, v29, v2, -v70
	v_fma_f16 v38, v38, v2, v71
	v_fma_f16 v24, v24, v3, -v72
	v_fma_f16 v37, v37, v3, v73
	v_fma_f16 v36, v36, v20, v75
	;; [unrolled: 1-line block ×3, first 2 shown]
	v_add_f16_e32 v60, v31, v47
	v_sub_f16_e32 v61, v49, v17
	v_sub_f16_e32 v31, v47, v31
	v_add_f16_e32 v47, v17, v49
	v_add_f16_e32 v17, v27, v43
	v_sub_f16_e32 v27, v27, v43
	v_add_f16_e32 v43, v28, v25
	v_add_f16_e32 v49, v42, v44
	v_sub_f16_e32 v42, v42, v44
	v_add_f16_e32 v44, v39, v36
	v_sub_f16_e32 v25, v28, v25
	v_sub_f16_e32 v28, v39, v36
	v_add_f16_e32 v36, v29, v24
	v_add_f16_e32 v39, v38, v37
	v_sub_f16_e32 v24, v24, v29
	v_sub_f16_e32 v29, v37, v38
	v_add_f16_e32 v37, v43, v17
	v_sub_f16_e32 v34, v52, v50
	v_sub_f16_e32 v62, v53, v35
	v_add_f16_e32 v35, v35, v53
	v_add_f16_e32 v64, v50, v52
	;; [unrolled: 1-line block ×3, first 2 shown]
	v_sub_f16_e32 v50, v43, v17
	v_sub_f16_e32 v52, v17, v36
	;; [unrolled: 1-line block ×3, first 2 shown]
	v_add_f16_e32 v17, v24, v25
	v_add_f16_e32 v53, v29, v28
	v_sub_f16_e32 v55, v29, v28
	v_add_f16_e32 v36, v36, v37
	v_add_f16_e32 v33, v51, v46
	;; [unrolled: 1-line block ×3, first 2 shown]
	v_sub_f16_e32 v32, v54, v32
	v_sub_f16_e32 v46, v46, v51
	;; [unrolled: 1-line block ×10, first 2 shown]
	v_add_f16_e32 v37, v39, v38
	v_add_f16_e32 v27, v17, v27
	v_add_f16_e32 v38, v53, v42
	v_add_f16_e32 v17, v26, v36
	v_mul_f16_e32 v42, 0x2b26, v43
	v_mul_f16_e32 v53, 0xb846, v55
	v_add_f16_e32 v11, v11, v37
	v_mul_f16_e32 v26, 0x3a52, v52
	v_mul_f16_e32 v39, 0x3a52, v49
	;; [unrolled: 1-line block ×6, first 2 shown]
	v_fma_f16 v36, v36, s16, v17
	v_fma_f16 v42, v50, s17, -v42
	v_fma_f16 v28, v28, s1, -v53
	v_fma_f16 v37, v37, s16, v11
	v_fma_f16 v43, v43, s0, v26
	;; [unrolled: 1-line block ×3, first 2 shown]
	v_fma_f16 v49, v51, s17, -v49
	v_fma_f16 v26, v50, s18, -v26
	;; [unrolled: 1-line block ×3, first 2 shown]
	v_fma_f16 v50, v24, s19, v52
	v_fma_f16 v51, v29, s19, v53
	v_fma_f16 v25, v25, s1, -v52
	v_fma_f16 v24, v24, s20, -v54
	;; [unrolled: 1-line block ×3, first 2 shown]
	v_add_f16_e32 v42, v42, v36
	v_fma_f16 v28, v38, s21, v28
	v_add_f16_e32 v43, v43, v36
	v_add_f16_e32 v44, v44, v37
	;; [unrolled: 1-line block ×5, first 2 shown]
	v_fma_f16 v39, v27, s21, v50
	v_fma_f16 v50, v38, s21, v51
	;; [unrolled: 1-line block ×5, first 2 shown]
	v_sub_f16_e32 v26, v42, v28
	v_add_f16_e32 v27, v28, v42
	v_mul_u32_u24_e32 v28, 0x16c, v45
	v_add_f16_e32 v25, v29, v36
	v_add_f16_e32 v54, v51, v49
	v_sub_f16_e32 v55, v49, v51
	v_sub_f16_e32 v57, v36, v29
	v_add_lshl_u32 v51, v28, v48, 2
	v_pack_b32_f16 v28, v59, v30
	v_pack_b32_f16 v29, v33, v34
	ds_write2_b32 v51, v28, v29 offset1:52
	v_pack_b32_f16 v28, v60, v61
	v_pack_b32_f16 v29, v62, v63
	ds_write2_b32 v51, v28, v29 offset0:104 offset1:156
	v_pack_b32_f16 v28, v35, v32
	v_pack_b32_f16 v29, v31, v47
	v_add_u32_e32 v30, 0x200, v51
	v_add_f16_e32 v24, v50, v43
	v_sub_f16_e32 v52, v44, v39
	v_sub_f16_e32 v53, v37, v56
	v_add_f16_e32 v56, v56, v37
	v_sub_f16_e32 v49, v43, v50
	v_add_f16_e32 v50, v39, v44
	ds_write2_b32 v30, v28, v29 offset0:80 offset1:132
	v_pack_b32_f16 v28, v46, v64
	v_lshlrev_b32_e32 v42, 2, v58
	ds_write_b32 v51, v28 offset:1248
	s_and_saveexec_b64 s[0:1], s[2:3]
	s_cbranch_execz .LBB0_11
; %bb.10:
	s_mov_b32 s16, 0x5040100
	v_perm_b32 v11, v11, v17, s16
	v_perm_b32 v17, v52, v24, s16
	v_add_u32_e32 v28, 0x1000, v42
	ds_write2_b32 v28, v11, v17 offset0:68 offset1:120
	v_perm_b32 v11, v53, v25, s16
	v_perm_b32 v17, v54, v26, s16
	ds_write2_b32 v28, v11, v17 offset0:172 offset1:224
	v_perm_b32 v11, v55, v27, s16
	v_perm_b32 v17, v56, v57, s16
	v_add_u32_e32 v28, 0x1400, v42
	ds_write2_b32 v28, v11, v17 offset0:20 offset1:72
	v_perm_b32 v11, v50, v49, s16
	ds_write_b32 v42, v11 offset:5616
.LBB0_11:
	s_or_b64 exec, exec, s[0:1]
	s_waitcnt lgkmcnt(0)
	s_barrier
	global_load_dword v43, v16, s[6:7] offset:1404
	global_load_dword v44, v16, s[6:7] offset:2132
	v_add_u32_e32 v11, 0xb00, v16
	ds_read2_b32 v[28:29], v16 offset1:182
	v_add_u32_e32 v66, 0x500, v16
	v_add_u32_e32 v67, 0x1000, v16
	ds_read2_b32 v[30:31], v11 offset0:24 offset1:206
	ds_read2_b32 v[32:33], v66 offset0:44 offset1:226
	;; [unrolled: 1-line block ×3, first 2 shown]
	v_mov_b32_e32 v17, 0
	s_waitcnt lgkmcnt(3)
	v_lshrrev_b32_e32 v38, 16, v28
	s_waitcnt lgkmcnt(2)
	v_lshrrev_b32_e32 v45, 16, v30
	v_lshrrev_b32_e32 v46, 16, v31
	s_waitcnt lgkmcnt(0)
	v_lshrrev_b32_e32 v48, 16, v34
	v_lshrrev_b32_e32 v59, 16, v35
	;; [unrolled: 1-line block ×5, first 2 shown]
	s_movk_i32 s0, 0x1000
	v_lshl_add_u64 v[36:37], s[6:7], 0, v[16:17]
	s_barrier
	s_waitcnt vmcnt(1)
	v_mul_f16_sdwa v60, v45, v43 dst_sel:DWORD dst_unused:UNUSED_PAD src0_sel:DWORD src1_sel:WORD_1
	v_mul_f16_sdwa v61, v30, v43 dst_sel:DWORD dst_unused:UNUSED_PAD src0_sel:DWORD src1_sel:WORD_1
	s_waitcnt vmcnt(0)
	v_mul_f16_sdwa v62, v46, v44 dst_sel:DWORD dst_unused:UNUSED_PAD src0_sel:DWORD src1_sel:WORD_1
	v_mul_f16_sdwa v63, v31, v44 dst_sel:DWORD dst_unused:UNUSED_PAD src0_sel:DWORD src1_sel:WORD_1
	;; [unrolled: 1-line block ×6, first 2 shown]
	v_fma_f16 v30, v30, v43, -v60
	v_fma_f16 v45, v45, v43, v61
	v_fma_f16 v31, v31, v44, -v62
	v_fma_f16 v46, v46, v44, v63
	;; [unrolled: 2-line block ×4, first 2 shown]
	v_sub_f16_e32 v30, v28, v30
	v_sub_f16_e32 v45, v38, v45
	;; [unrolled: 1-line block ×8, first 2 shown]
	v_fma_f16 v28, v28, 2.0, -v30
	v_fma_f16 v38, v38, 2.0, -v45
	;; [unrolled: 1-line block ×8, first 2 shown]
	v_pack_b32_f16 v30, v30, v45
	v_pack_b32_f16 v31, v31, v46
	;; [unrolled: 1-line block ×6, first 2 shown]
	ds_write2_b32 v66, v30, v31 offset0:44 offset1:226
	v_pack_b32_f16 v30, v32, v47
	v_pack_b32_f16 v31, v33, v58
	ds_write2_b32 v67, v34, v35 offset0:68 offset1:250
	ds_write2_b32 v16, v28, v29 offset1:182
	ds_write2_b32 v11, v30, v31 offset0:24 offset1:206
	v_add_co_u32_e32 v28, vcc, s0, v36
	s_waitcnt lgkmcnt(0)
	s_nop 0
	v_addc_co_u32_e32 v29, vcc, 0, v37, vcc
	s_barrier
	global_load_dword v45, v16, s[6:7] offset:2860
	global_load_dword v46, v16, s[6:7] offset:3588
	global_load_dword v47, v[28:29], off offset:220
	global_load_dword v48, v[28:29], off offset:948
	ds_read2_b32 v[36:37], v16 offset1:182
	ds_read2_b32 v[28:29], v11 offset0:24 offset1:206
	ds_read2_b32 v[38:39], v66 offset0:44 offset1:226
	ds_read2_b32 v[30:31], v67 offset0:68 offset1:250
	s_waitcnt lgkmcnt(3)
	v_lshrrev_b32_e32 v32, 16, v36
	s_waitcnt lgkmcnt(2)
	v_lshrrev_b32_e32 v33, 16, v28
	v_lshrrev_b32_e32 v35, 16, v29
	s_waitcnt lgkmcnt(0)
	v_lshrrev_b32_e32 v58, 16, v30
	v_lshrrev_b32_e32 v59, 16, v31
	;; [unrolled: 1-line block ×5, first 2 shown]
	s_waitcnt vmcnt(3)
	v_mul_f16_sdwa v60, v33, v45 dst_sel:DWORD dst_unused:UNUSED_PAD src0_sel:DWORD src1_sel:WORD_1
	v_mul_f16_sdwa v61, v28, v45 dst_sel:DWORD dst_unused:UNUSED_PAD src0_sel:DWORD src1_sel:WORD_1
	s_waitcnt vmcnt(2)
	v_mul_f16_sdwa v62, v35, v46 dst_sel:DWORD dst_unused:UNUSED_PAD src0_sel:DWORD src1_sel:WORD_1
	v_mul_f16_sdwa v65, v29, v46 dst_sel:DWORD dst_unused:UNUSED_PAD src0_sel:DWORD src1_sel:WORD_1
	;; [unrolled: 3-line block ×4, first 2 shown]
	v_fma_f16 v28, v28, v45, -v60
	v_fma_f16 v33, v33, v45, v61
	v_fma_f16 v60, v29, v46, -v62
	v_fma_f16 v35, v35, v46, v65
	;; [unrolled: 2-line block ×4, first 2 shown]
	v_sub_f16_e32 v29, v36, v28
	v_sub_f16_e32 v58, v32, v33
	;; [unrolled: 1-line block ×8, first 2 shown]
	v_fma_f16 v28, v36, 2.0, -v29
	v_fma_f16 v60, v32, 2.0, -v58
	;; [unrolled: 1-line block ×8, first 2 shown]
	v_pack_b32_f16 v36, v29, v58
	v_pack_b32_f16 v37, v31, v59
	;; [unrolled: 1-line block ×6, first 2 shown]
	ds_write2_b32 v11, v36, v37 offset0:24 offset1:206
	v_pack_b32_f16 v11, v32, v63
	v_pack_b32_f16 v36, v34, v64
	ds_write2_b32 v67, v38, v39 offset0:68 offset1:250
	ds_write2_b32 v16, v68, v69 offset1:182
	ds_write2_b32 v66, v11, v36 offset0:44 offset1:226
	s_waitcnt lgkmcnt(0)
	s_barrier
	s_and_saveexec_b64 s[0:1], s[4:5]
	s_cbranch_execz .LBB0_13
; %bb.12:
	v_lshl_add_u64 v[36:37], s[12:13], 0, v[16:17]
	v_add_co_u32_e32 v38, vcc, 0x1000, v36
	s_mov_b64 s[6:7], 0x16c0
	s_nop 0
	v_addc_co_u32_e32 v39, vcc, 0, v37, vcc
	global_load_dword v11, v[38:39], off offset:1728
	v_lshl_add_u64 v[38:39], v[36:37], 0, s[6:7]
	s_movk_i32 s6, 0x2000
	global_load_dword v17, v[38:39], off offset:448
	global_load_dword v72, v[38:39], off offset:896
	;; [unrolled: 1-line block ×8, first 2 shown]
	v_add_co_u32_e32 v36, vcc, s6, v36
	v_add_u32_e32 v83, 0x400, v16
	s_nop 0
	v_addc_co_u32_e32 v37, vcc, 0, v37, vcc
	global_load_dword v79, v[36:37], off offset:2112
	global_load_dword v80, v[36:37], off offset:2560
	;; [unrolled: 1-line block ×4, first 2 shown]
	ds_read_b32 v36, v16
	v_add_u32_e32 v84, 0x800, v16
	v_add_u32_e32 v85, 0xc00, v16
	;; [unrolled: 1-line block ×3, first 2 shown]
	s_waitcnt lgkmcnt(0)
	v_lshrrev_b32_e32 v37, 16, v36
	s_waitcnt vmcnt(12)
	v_mul_f16_sdwa v38, v37, v11 dst_sel:DWORD dst_unused:UNUSED_PAD src0_sel:DWORD src1_sel:WORD_1
	v_mul_f16_sdwa v39, v36, v11 dst_sel:DWORD dst_unused:UNUSED_PAD src0_sel:DWORD src1_sel:WORD_1
	v_fma_f16 v36, v36, v11, -v38
	v_fma_f16 v11, v37, v11, v39
	v_pack_b32_f16 v11, v36, v11
	ds_write_b32 v16, v11
	ds_read2_b32 v[36:37], v16 offset0:112 offset1:224
	ds_read2_b32 v[38:39], v83 offset0:80 offset1:192
	;; [unrolled: 1-line block ×5, first 2 shown]
	s_waitcnt lgkmcnt(4)
	v_lshrrev_b32_e32 v11, 16, v36
	s_waitcnt vmcnt(11)
	v_mul_f16_sdwa v87, v36, v17 dst_sel:DWORD dst_unused:UNUSED_PAD src0_sel:DWORD src1_sel:WORD_1
	v_lshrrev_b32_e32 v88, 16, v37
	s_waitcnt vmcnt(10)
	v_mul_f16_sdwa v89, v37, v72 dst_sel:DWORD dst_unused:UNUSED_PAD src0_sel:DWORD src1_sel:WORD_1
	s_waitcnt lgkmcnt(3)
	v_lshrrev_b32_e32 v90, 16, v38
	s_waitcnt vmcnt(9)
	v_mul_f16_sdwa v91, v38, v73 dst_sel:DWORD dst_unused:UNUSED_PAD src0_sel:DWORD src1_sel:WORD_1
	v_lshrrev_b32_e32 v92, 16, v39
	s_waitcnt vmcnt(8)
	v_mul_f16_sdwa v93, v39, v74 dst_sel:DWORD dst_unused:UNUSED_PAD src0_sel:DWORD src1_sel:WORD_1
	;; [unrolled: 7-line block ×3, first 2 shown]
	s_waitcnt lgkmcnt(1)
	v_lshrrev_b32_e32 v98, 16, v68
	s_waitcnt vmcnt(5)
	v_mul_f16_sdwa v99, v68, v77 dst_sel:DWORD dst_unused:UNUSED_PAD src0_sel:DWORD src1_sel:WORD_1
	v_lshrrev_b32_e32 v100, 16, v69
	v_mul_f16_sdwa v103, v11, v17 dst_sel:DWORD dst_unused:UNUSED_PAD src0_sel:DWORD src1_sel:WORD_1
	v_fma_f16 v11, v11, v17, v87
	v_mul_f16_sdwa v87, v88, v72 dst_sel:DWORD dst_unused:UNUSED_PAD src0_sel:DWORD src1_sel:WORD_1
	s_waitcnt vmcnt(4)
	v_mul_f16_sdwa v101, v69, v78 dst_sel:DWORD dst_unused:UNUSED_PAD src0_sel:DWORD src1_sel:WORD_1
	v_fma_f16 v88, v88, v72, v89
	v_mul_f16_sdwa v89, v90, v73 dst_sel:DWORD dst_unused:UNUSED_PAD src0_sel:DWORD src1_sel:WORD_1
	v_fma_f16 v90, v90, v73, v91
	;; [unrolled: 2-line block ×6, first 2 shown]
	v_mul_f16_sdwa v99, v100, v78 dst_sel:DWORD dst_unused:UNUSED_PAD src0_sel:DWORD src1_sel:WORD_1
	v_fma_f16 v17, v36, v17, -v103
	v_fma_f16 v36, v37, v72, -v87
	s_waitcnt lgkmcnt(0)
	v_lshrrev_b32_e32 v102, 16, v70
	v_fma_f16 v100, v100, v78, v101
	v_fma_f16 v37, v38, v73, -v89
	v_fma_f16 v38, v39, v74, -v91
	v_fma_f16 v39, v66, v75, -v93
	v_fma_f16 v66, v67, v76, -v95
	v_fma_f16 v67, v68, v77, -v97
	v_fma_f16 v68, v69, v78, -v99
	v_pack_b32_f16 v11, v17, v11
	v_pack_b32_f16 v17, v36, v88
	;; [unrolled: 1-line block ×8, first 2 shown]
	ds_write2_b32 v16, v11, v17 offset0:112 offset1:224
	ds_write2_b32 v83, v36, v37 offset0:80 offset1:192
	;; [unrolled: 1-line block ×4, first 2 shown]
	s_waitcnt vmcnt(0)
	v_mul_f16_sdwa v11, v102, v82 dst_sel:DWORD dst_unused:UNUSED_PAD src0_sel:DWORD src1_sel:WORD_1
	v_mul_f16_sdwa v17, v70, v82 dst_sel:DWORD dst_unused:UNUSED_PAD src0_sel:DWORD src1_sel:WORD_1
	v_fma_f16 v11, v70, v82, -v11
	v_fma_f16 v17, v102, v82, v17
	v_pack_b32_f16 v11, v11, v17
	v_lshrrev_b32_e32 v17, 16, v71
	v_mul_f16_sdwa v36, v17, v79 dst_sel:DWORD dst_unused:UNUSED_PAD src0_sel:DWORD src1_sel:WORD_1
	v_add_u32_e32 v39, 0x1200, v16
	v_fma_f16 v38, v71, v79, -v36
	ds_read2_b32 v[36:37], v39 offset0:80 offset1:192
	v_mul_f16_sdwa v66, v71, v79 dst_sel:DWORD dst_unused:UNUSED_PAD src0_sel:DWORD src1_sel:WORD_1
	v_fma_f16 v17, v17, v79, v66
	v_pack_b32_f16 v17, v38, v17
	ds_write2_b32 v86, v11, v17 offset0:112 offset1:224
	s_waitcnt lgkmcnt(1)
	v_lshrrev_b32_e32 v11, 16, v36
	v_mul_f16_sdwa v17, v11, v80 dst_sel:DWORD dst_unused:UNUSED_PAD src0_sel:DWORD src1_sel:WORD_1
	v_fma_f16 v17, v36, v80, -v17
	v_mul_f16_sdwa v36, v36, v80 dst_sel:DWORD dst_unused:UNUSED_PAD src0_sel:DWORD src1_sel:WORD_1
	v_fma_f16 v11, v11, v80, v36
	v_pack_b32_f16 v11, v17, v11
	v_lshrrev_b32_e32 v17, 16, v37
	v_mul_f16_sdwa v36, v17, v81 dst_sel:DWORD dst_unused:UNUSED_PAD src0_sel:DWORD src1_sel:WORD_1
	v_fma_f16 v36, v37, v81, -v36
	v_mul_f16_sdwa v37, v37, v81 dst_sel:DWORD dst_unused:UNUSED_PAD src0_sel:DWORD src1_sel:WORD_1
	v_fma_f16 v17, v17, v81, v37
	v_pack_b32_f16 v17, v36, v17
	ds_write2_b32 v39, v11, v17 offset0:80 offset1:192
.LBB0_13:
	s_or_b64 exec, exec, s[0:1]
	s_waitcnt lgkmcnt(0)
	s_barrier
	s_and_saveexec_b64 s[0:1], s[4:5]
	s_cbranch_execz .LBB0_15
; %bb.14:
	v_add_u32_e32 v11, 0x200, v16
	ds_read2_b32 v[30:31], v11 offset0:96 offset1:208
	v_add_u32_e32 v11, 0xa00, v16
	ds_read2_b32 v[34:35], v11 offset0:32 offset1:144
	v_add_u32_e32 v11, 0xc00, v16
	v_add_u32_e32 v17, 0x600, v16
	ds_read2_b32 v[24:25], v11 offset0:128 offset1:240
	v_add_u32_e32 v11, 0x1000, v16
	ds_read2_b32 v[28:29], v16 offset1:112
	ds_read2_b32 v[32:33], v17 offset0:64 offset1:176
	ds_read2_b32 v[26:27], v11 offset0:96 offset1:208
	ds_read_b32 v57, v16 offset:5376
	s_waitcnt lgkmcnt(6)
	v_lshrrev_b32_e32 v62, 16, v30
	s_waitcnt lgkmcnt(3)
	v_lshrrev_b32_e32 v60, 16, v28
	v_lshrrev_b32_e32 v58, 16, v29
	;; [unrolled: 1-line block ×3, first 2 shown]
	s_waitcnt lgkmcnt(2)
	v_lshrrev_b32_e32 v63, 16, v32
	v_lshrrev_b32_e32 v61, 16, v33
	;; [unrolled: 1-line block ×6, first 2 shown]
	s_waitcnt lgkmcnt(1)
	v_lshrrev_b32_e32 v54, 16, v26
	v_lshrrev_b32_e32 v55, 16, v27
	s_waitcnt lgkmcnt(0)
	v_lshrrev_b32_e32 v56, 16, v57
.LBB0_15:
	s_or_b64 exec, exec, s[0:1]
	v_sub_f16_e32 v117, v58, v56
	v_add_f16_e32 v95, v57, v29
	v_add_f16_e32 v107, v56, v58
	s_movk_i32 s16, 0x3b15
	v_mul_f16_e32 v70, 0xb770, v117
	v_sub_f16_e32 v131, v62, v55
	v_sub_f16_e32 v123, v29, v57
	s_mov_b32 s0, 0xb770
	v_mul_f16_e32 v71, 0x3b15, v107
	v_fma_f16 v11, v95, s16, -v70
	s_movk_i32 s7, 0x388b
	v_add_f16_e32 v109, v27, v30
	v_add_f16_e32 v124, v55, v62
	v_mul_f16_e32 v73, 0xba95, v131
	v_add_f16_e32 v11, v28, v11
	v_fma_f16 v17, v123, s0, v71
	s_mov_b32 s0, 0xba95
	v_sub_f16_e32 v135, v30, v27
	v_mul_f16_e32 v75, 0x388b, v124
	v_fma_f16 v77, v109, s7, -v73
	v_add_f16_e32 v17, v60, v17
	v_mul_f16_e32 v72, 0xba95, v117
	v_add_f16_e32 v11, v77, v11
	v_fma_f16 v77, v135, s0, v75
	v_mul_f16_e32 v74, 0x388b, v107
	v_fma_f16 v36, v95, s7, -v72
	s_mov_b32 s17, 0xb5ac
	v_add_f16_e32 v17, v77, v17
	v_mul_f16_e32 v77, 0xbb7b, v131
	v_add_f16_e32 v36, v28, v36
	v_fma_f16 v37, v123, s0, v74
	s_movk_i32 s6, 0x2fb7
	v_mul_f16_e32 v76, 0xbbf1, v117
	s_mov_b32 s20, 0xbb7b
	v_mul_f16_e32 v80, 0xb5ac, v124
	v_fma_f16 v78, v109, s17, -v77
	v_add_f16_e32 v37, v60, v37
	s_mov_b32 s1, 0xbbf1
	v_mul_f16_e32 v79, 0x2fb7, v107
	v_fma_f16 v38, v95, s6, -v76
	v_add_f16_e32 v36, v78, v36
	v_fma_f16 v78, v135, s20, v80
	s_mov_b32 s19, 0xbbc4
	v_mul_f16_e32 v83, 0xb3a8, v131
	v_add_f16_e32 v38, v28, v38
	v_fma_f16 v39, v123, s1, v79
	v_mul_f16_e32 v82, 0xbb7b, v117
	v_add_f16_e32 v37, v78, v37
	v_mul_f16_e32 v87, 0xbbc4, v124
	v_fma_f16 v78, v109, s19, -v83
	v_add_f16_e32 v39, v60, v39
	v_mul_f16_e32 v85, 0xb5ac, v107
	v_fma_f16 v66, v95, s17, -v82
	s_mov_b32 s18, 0xb9fd
	v_add_f16_e32 v38, v78, v38
	v_fma_f16 v78, v135, s22, v87
	v_mul_f16_e32 v91, 0x394e, v131
	v_add_f16_e32 v66, v28, v66
	v_fma_f16 v67, v123, s20, v85
	v_mul_f16_e32 v90, 0xb94e, v117
	v_add_f16_e32 v39, v78, v39
	s_movk_i32 s23, 0x394e
	v_mul_f16_e32 v96, 0xb9fd, v124
	v_fma_f16 v78, v109, s18, -v91
	v_add_f16_e32 v67, v60, v67
	s_mov_b32 s21, 0xb94e
	v_mul_f16_e32 v97, 0xb9fd, v107
	v_fma_f16 v68, v95, s18, -v90
	v_add_f16_e32 v66, v78, v66
	v_fma_f16 v78, v135, s23, v96
	v_mul_f16_e32 v101, 0x3bf1, v131
	v_add_f16_e32 v68, v28, v68
	v_fma_f16 v69, v123, s21, v97
	v_add_f16_e32 v67, v78, v67
	s_movk_i32 s24, 0x3bf1
	v_mul_f16_e32 v110, 0x2fb7, v124
	v_fma_f16 v78, v109, s6, -v101
	v_add_f16_e32 v69, v60, v69
	v_add_f16_e32 v68, v78, v68
	v_fma_f16 v78, v135, s24, v110
	v_sub_f16_e32 v143, v59, v54
	v_add_f16_e32 v69, v78, v69
	v_add_f16_e32 v119, v26, v31
	;; [unrolled: 1-line block ×3, first 2 shown]
	v_mul_f16_e32 v78, 0xbbf1, v143
	v_sub_f16_e32 v137, v31, v26
	v_mul_f16_e32 v81, 0x2fb7, v133
	v_fma_f16 v84, v119, s6, -v78
	v_add_f16_e32 v11, v84, v11
	v_fma_f16 v84, v137, s1, v81
	v_add_f16_e32 v17, v84, v17
	v_mul_f16_e32 v84, 0xb3a8, v143
	v_mul_f16_e32 v88, 0xbbc4, v133
	v_fma_f16 v86, v119, s19, -v84
	v_add_f16_e32 v36, v86, v36
	v_fma_f16 v86, v137, s22, v88
	v_mul_f16_e32 v92, 0x3b7b, v143
	v_add_f16_e32 v37, v86, v37
	s_movk_i32 s25, 0x3b7b
	v_mul_f16_e32 v98, 0xb5ac, v133
	v_fma_f16 v86, v119, s17, -v92
	v_add_f16_e32 v38, v86, v38
	v_fma_f16 v86, v137, s25, v98
	v_mul_f16_e32 v102, 0x3770, v143
	v_add_f16_e32 v39, v86, v39
	s_movk_i32 s25, 0x3770
	v_mul_f16_e32 v106, 0x3b15, v133
	v_fma_f16 v86, v119, s16, -v102
	v_add_f16_e32 v66, v86, v66
	v_fma_f16 v86, v137, s25, v106
	v_mul_f16_e32 v113, 0xba95, v143
	v_add_f16_e32 v67, v86, v67
	v_mul_f16_e32 v120, 0x388b, v133
	v_fma_f16 v86, v119, s7, -v113
	v_add_f16_e32 v68, v86, v68
	v_fma_f16 v86, v137, s0, v120
	v_sub_f16_e32 v150, v63, v53
	v_add_f16_e32 v69, v86, v69
	v_add_f16_e32 v129, v25, v32
	;; [unrolled: 1-line block ×3, first 2 shown]
	v_mul_f16_e32 v86, 0xbb7b, v150
	v_sub_f16_e32 v138, v32, v25
	v_mul_f16_e32 v89, 0xb5ac, v144
	v_fma_f16 v93, v129, s17, -v86
	v_add_f16_e32 v11, v93, v11
	v_fma_f16 v93, v138, s20, v89
	v_add_f16_e32 v17, v93, v17
	v_mul_f16_e32 v93, 0x394e, v150
	v_mul_f16_e32 v99, 0xb9fd, v144
	v_fma_f16 v94, v129, s18, -v93
	v_add_f16_e32 v36, v94, v36
	v_fma_f16 v94, v138, s23, v99
	v_mul_f16_e32 v103, 0x3770, v150
	v_add_f16_e32 v37, v94, v37
	v_mul_f16_e32 v108, 0x3b15, v144
	v_fma_f16 v94, v129, s16, -v103
	v_add_f16_e32 v38, v94, v38
	v_fma_f16 v94, v138, s25, v108
	v_mul_f16_e32 v114, 0xbbf1, v150
	v_add_f16_e32 v39, v94, v39
	;; [unrolled: 6-line block ×3, first 2 shown]
	s_movk_i32 s1, 0x33a8
	v_mul_f16_e32 v128, 0xbbc4, v144
	v_fma_f16 v94, v129, s19, -v125
	v_add_f16_e32 v68, v94, v68
	v_fma_f16 v94, v138, s1, v128
	v_sub_f16_e32 v152, v61, v52
	v_add_f16_e32 v69, v94, v69
	v_add_f16_e32 v139, v24, v33
	;; [unrolled: 1-line block ×3, first 2 shown]
	v_mul_f16_e32 v94, 0xb94e, v152
	v_sub_f16_e32 v141, v33, v24
	v_mul_f16_e32 v100, 0xb9fd, v149
	v_fma_f16 v104, v139, s18, -v94
	v_add_f16_e32 v11, v104, v11
	v_fma_f16 v104, v141, s21, v100
	v_add_f16_e32 v17, v104, v17
	v_mul_f16_e32 v104, 0x3bf1, v152
	v_mul_f16_e32 v111, 0x2fb7, v149
	v_fma_f16 v105, v139, s6, -v104
	v_add_f16_e32 v36, v105, v36
	v_fma_f16 v105, v141, s24, v111
	v_mul_f16_e32 v115, 0xba95, v152
	v_add_f16_e32 v127, v105, v37
	v_mul_f16_e32 v121, 0x388b, v149
	v_fma_f16 v37, v139, s7, -v115
	v_add_f16_e32 v38, v37, v38
	v_fma_f16 v37, v141, s0, v121
	v_mul_f16_e32 v126, 0x33a8, v152
	v_add_f16_e32 v136, v37, v39
	;; [unrolled: 6-line block ×3, first 2 shown]
	v_mul_f16_e32 v140, 0x3b15, v149
	v_fma_f16 v37, v139, s16, -v134
	v_sub_f16_e32 v153, v64, v65
	v_add_f16_e32 v154, v37, v68
	v_fma_f16 v37, v141, s25, v140
	v_add_f16_e32 v145, v35, v34
	v_add_f16_e32 v151, v65, v64
	v_mul_f16_e32 v105, 0xb3a8, v153
	v_add_f16_e32 v69, v37, v69
	v_sub_f16_e32 v146, v34, v35
	v_mul_f16_e32 v112, 0xbbc4, v151
	v_fma_f16 v37, v145, s19, -v105
	v_add_f16_e32 v37, v37, v11
	v_fma_f16 v11, v146, s22, v112
	v_mul_f16_e32 v116, 0x3770, v153
	v_add_f16_e32 v17, v11, v17
	v_mul_f16_e32 v122, 0x3b15, v151
	v_fma_f16 v11, v145, s16, -v116
	v_add_f16_e32 v36, v11, v36
	v_fma_f16 v11, v146, s25, v122
	v_add_f16_e32 v66, v11, v127
	v_mul_f16_e32 v127, 0xb94e, v153
	v_mul_f16_e32 v132, 0xb9fd, v151
	v_fma_f16 v11, v145, s18, -v127
	v_add_f16_e32 v39, v11, v38
	v_fma_f16 v11, v146, s21, v132
	v_add_f16_e32 v68, v11, v136
	v_mul_f16_e32 v136, 0x3a95, v153
	s_movk_i32 s0, 0x3a95
	v_mul_f16_e32 v142, 0x388b, v151
	v_fma_f16 v11, v145, s7, -v136
	v_add_f16_e32 v38, v11, v147
	v_fma_f16 v11, v146, s0, v142
	v_mul_f16_e32 v147, 0xbb7b, v153
	v_add_f16_e32 v67, v11, v67
	v_mul_f16_e32 v148, 0xb5ac, v151
	v_fma_f16 v11, v145, s17, -v147
	v_add_f16_e32 v11, v11, v154
	v_fma_f16 v154, v146, s20, v148
	v_add_f16_e32 v69, v154, v69
	s_barrier
	s_and_saveexec_b64 s[0:1], s[4:5]
	s_cbranch_execz .LBB0_17
; %bb.16:
	v_mul_f16_e32 v155, 0xb770, v123
	v_mul_f16_e32 v157, 0xba95, v123
	;; [unrolled: 1-line block ×11, first 2 shown]
	v_fma_f16 v182, v107, s19, v123
	v_mul_f16_e32 v135, 0x3770, v135
	v_add_f16_e32 v182, v60, v182
	v_fma_f16 v183, v124, s16, v135
	v_add_f16_e32 v182, v183, v182
	v_mul_f16_e32 v183, 0xb94e, v137
	v_fma_f16 v184, v133, s18, v183
	v_add_f16_e32 v182, v184, v182
	v_mul_f16_e32 v184, 0x3a95, v138
	v_fma_f16 v185, v144, s7, v184
	v_add_f16_e32 v182, v185, v182
	v_mul_f16_e32 v185, 0xbb7b, v141
	v_fma_f16 v186, v149, s17, v185
	v_add_f16_e32 v182, v186, v182
	v_mul_f16_e32 v186, 0x3bf1, v146
	v_mul_f16_e32 v154, 0x3b15, v95
	v_mul_f16_e32 v156, 0x388b, v95
	;; [unrolled: 1-line block ×5, first 2 shown]
	v_fma_f16 v187, v151, s6, v186
	v_mul_f16_e32 v117, 0xb3a8, v117
	v_add_f16_e32 v182, v187, v182
	v_fma_f16 v187, v95, s19, -v117
	v_fma_f16 v95, v95, s19, v117
	v_add_f16_e32 v90, v162, v90
	v_add_f16_e32 v82, v160, v82
	;; [unrolled: 1-line block ×20, first 2 shown]
	v_mul_f16_e32 v131, 0x3770, v131
	v_add_f16_e32 v24, v25, v24
	v_add_f16_e32 v25, v58, v60
	v_fma_f16 v188, v109, s16, -v131
	v_mul_f16_e32 v143, 0xb94e, v143
	v_add_f16_e32 v25, v62, v25
	v_add_f16_e32 v187, v188, v187
	v_fma_f16 v188, v119, s18, -v143
	v_mul_f16_e32 v150, 0x3a95, v150
	v_fma_f16 v107, v107, s19, -v123
	v_add_f16_e32 v25, v59, v25
	v_add_f16_e32 v187, v188, v187
	v_fma_f16 v188, v129, s7, -v150
	v_mul_f16_e32 v152, 0xbb7b, v152
	v_fma_f16 v124, v124, s16, -v135
	v_add_f16_e32 v107, v60, v107
	v_add_f16_e32 v25, v63, v25
	;; [unrolled: 1-line block ×3, first 2 shown]
	v_fma_f16 v188, v139, s17, -v152
	v_mul_f16_e32 v153, 0x3bf1, v153
	v_add_f16_e32 v107, v124, v107
	v_fma_f16 v133, v133, s18, -v183
	v_add_f16_e32 v25, v61, v25
	v_mul_f16_e32 v164, 0x388b, v109
	v_mul_f16_e32 v166, 0xb5ac, v109
	;; [unrolled: 1-line block ×5, first 2 shown]
	v_add_f16_e32 v187, v188, v187
	v_fma_f16 v188, v145, s6, -v153
	v_add_f16_e32 v107, v133, v107
	v_fma_f16 v144, v144, s7, -v184
	v_fma_f16 v109, v109, s16, v131
	v_sub_f16_e32 v71, v71, v155
	v_add_f16_e32 v25, v64, v25
	v_mul_f16_e32 v174, 0x2fb7, v119
	v_mul_f16_e32 v175, 0xbbf1, v137
	;; [unrolled: 1-line block ×5, first 2 shown]
	v_add_f16_e32 v187, v188, v187
	v_mul_f16_e32 v188, 0x388b, v119
	v_add_f16_e32 v107, v144, v107
	v_fma_f16 v149, v149, s17, -v185
	v_add_f16_e32 v95, v109, v95
	v_fma_f16 v119, v119, s18, v143
	v_sub_f16_e32 v79, v79, v159
	v_sub_f16_e32 v74, v74, v157
	v_add_f16_e32 v71, v60, v71
	v_sub_f16_e32 v75, v75, v165
	v_add_f16_e32 v73, v164, v73
	v_add_f16_e32 v25, v65, v25
	v_mul_f16_e32 v177, 0xb3a8, v137
	v_mul_f16_e32 v179, 0x3b7b, v137
	;; [unrolled: 1-line block ×7, first 2 shown]
	v_add_f16_e32 v107, v149, v107
	v_mul_f16_e32 v149, 0xbbc4, v129
	v_fma_f16 v151, v151, s6, -v186
	v_add_f16_e32 v95, v119, v95
	v_fma_f16 v129, v129, s7, v150
	v_sub_f16_e32 v97, v97, v163
	v_sub_f16_e32 v85, v85, v161
	v_add_f16_e32 v79, v60, v79
	v_sub_f16_e32 v87, v87, v169
	v_add_f16_e32 v83, v168, v83
	v_add_f16_e32 v74, v60, v74
	v_sub_f16_e32 v80, v80, v167
	v_add_f16_e32 v77, v166, v77
	v_add_f16_e32 v71, v75, v71
	v_sub_f16_e32 v75, v81, v175
	v_add_f16_e32 v70, v73, v70
	v_add_f16_e32 v73, v174, v78
	v_add_f16_e32 v25, v52, v25
	v_mul_f16_e32 v181, 0x3770, v137
	v_mul_f16_e32 v137, 0xba95, v137
	v_mul_f16_e32 v183, 0x394e, v138
	v_mul_f16_e32 v184, 0x3770, v138
	v_mul_f16_e32 v186, 0xb9fd, v139
	v_add_f16_e32 v107, v151, v107
	v_mul_f16_e32 v151, 0xb94e, v141
	v_mul_f16_e32 v117, 0x2fb7, v139
	;; [unrolled: 1-line block ×4, first 2 shown]
	v_add_f16_e32 v95, v129, v95
	v_mul_f16_e32 v129, 0x3b15, v139
	v_fma_f16 v139, v139, s17, v152
	v_sub_f16_e32 v110, v110, v173
	v_add_f16_e32 v97, v60, v97
	v_add_f16_e32 v101, v172, v101
	;; [unrolled: 1-line block ×3, first 2 shown]
	v_sub_f16_e32 v96, v96, v171
	v_add_f16_e32 v91, v170, v91
	v_add_f16_e32 v79, v87, v79
	v_sub_f16_e32 v87, v98, v179
	v_add_f16_e32 v76, v83, v76
	v_add_f16_e32 v83, v178, v92
	v_add_f16_e32 v74, v80, v74
	v_sub_f16_e32 v80, v88, v177
	v_add_f16_e32 v72, v77, v72
	;; [unrolled: 4-line block ×3, first 2 shown]
	v_add_f16_e32 v73, v123, v86
	v_add_f16_e32 v25, v53, v25
	v_mul_f16_e32 v185, 0xbbf1, v138
	v_mul_f16_e32 v138, 0x33a8, v138
	;; [unrolled: 1-line block ×5, first 2 shown]
	v_add_f16_e32 v95, v139, v95
	v_mul_f16_e32 v139, 0xb3a8, v146
	v_fma_f16 v153, v145, s6, v153
	v_add_f16_e32 v97, v110, v97
	v_sub_f16_e32 v120, v120, v137
	v_add_f16_e32 v90, v101, v90
	v_add_f16_e32 v101, v188, v113
	v_add_f16_e32 v85, v96, v85
	v_sub_f16_e32 v96, v106, v181
	v_add_f16_e32 v82, v91, v82
	v_add_f16_e32 v91, v180, v102
	;; [unrolled: 4-line block ×5, first 2 shown]
	v_add_f16_e32 v24, v26, v24
	v_add_f16_e32 v25, v54, v25
	v_mul_f16_e32 v150, 0x33a8, v141
	v_mul_f16_e32 v141, 0x3770, v141
	v_add_f16_e32 v95, v153, v95
	v_mul_f16_e32 v153, 0x3b15, v145
	v_mul_f16_e32 v163, 0x3770, v146
	;; [unrolled: 1-line block ×4, first 2 shown]
	v_add_f16_e32 v97, v120, v97
	v_sub_f16_e32 v128, v128, v138
	v_add_f16_e32 v90, v101, v90
	v_add_f16_e32 v101, v149, v125
	v_add_f16_e32 v85, v96, v85
	v_sub_f16_e32 v96, v118, v185
	v_add_f16_e32 v82, v91, v82
	v_add_f16_e32 v91, v144, v114
	;; [unrolled: 4-line block ×5, first 2 shown]
	v_add_f16_e32 v24, v27, v24
	v_add_f16_e32 v25, v55, v25
	v_mul_f16_e32 v137, 0x388b, v145
	v_mul_f16_e32 v120, 0x3a95, v146
	;; [unrolled: 1-line block ×4, first 2 shown]
	v_add_f16_e32 v97, v128, v97
	v_sub_f16_e32 v128, v140, v141
	v_add_f16_e32 v90, v101, v90
	v_add_f16_e32 v101, v129, v134
	v_add_f16_e32 v85, v96, v85
	v_sub_f16_e32 v96, v130, v150
	v_add_f16_e32 v82, v91, v82
	v_add_f16_e32 v91, v119, v126
	;; [unrolled: 4-line block ×4, first 2 shown]
	v_add_f16_e32 v71, v75, v71
	v_add_f16_e32 v70, v73, v70
	v_add_f16_e32 v24, v57, v24
	v_add_f16_e32 v25, v56, v25
	v_add_f16_e32 v97, v128, v97
	v_sub_f16_e32 v128, v148, v146
	v_add_f16_e32 v90, v101, v90
	v_add_f16_e32 v101, v145, v147
	;; [unrolled: 1-line block ×3, first 2 shown]
	v_sub_f16_e32 v96, v142, v120
	v_add_f16_e32 v82, v91, v82
	v_add_f16_e32 v91, v137, v136
	;; [unrolled: 1-line block ×6, first 2 shown]
	v_lshlrev_b32_e32 v15, 2, v15
	v_pack_b32_f16 v26, v70, v71
	v_pack_b32_f16 v24, v24, v25
	v_add_f16_e32 v97, v128, v97
	v_add_f16_e32 v90, v101, v90
	;; [unrolled: 1-line block ×4, first 2 shown]
	ds_write2_b32 v15, v24, v26 offset1:1
	v_pack_b32_f16 v24, v76, v79
	v_pack_b32_f16 v25, v72, v74
	ds_write2_b32 v15, v25, v24 offset0:2 offset1:3
	v_pack_b32_f16 v24, v90, v97
	v_pack_b32_f16 v25, v82, v85
	ds_write2_b32 v15, v25, v24 offset0:4 offset1:5
	v_pack_b32_f16 v24, v187, v182
	v_pack_b32_f16 v25, v95, v107
	s_mov_b32 s6, 0x5040100
	ds_write2_b32 v15, v25, v24 offset0:6 offset1:7
	v_perm_b32 v24, v67, v38, s6
	v_perm_b32 v25, v69, v11, s6
	ds_write2_b32 v15, v25, v24 offset0:8 offset1:9
	v_perm_b32 v24, v66, v36, s6
	v_perm_b32 v25, v68, v39, s6
	ds_write2_b32 v15, v25, v24 offset0:10 offset1:11
	v_perm_b32 v24, v17, v37, s6
	ds_write_b32 v15, v24 offset:48
.LBB0_17:
	s_or_b64 exec, exec, s[0:1]
	v_add_u32_e32 v15, 0x500, v16
	s_waitcnt lgkmcnt(0)
	s_barrier
	ds_read2_b32 v[26:27], v15 offset0:44 offset1:226
	v_add_u32_e32 v15, 0xb00, v16
	ds_read2_b32 v[28:29], v15 offset0:24 offset1:206
	v_add_u32_e32 v15, 0x1000, v16
	ds_read2_b32 v[30:31], v15 offset0:68 offset1:250
	s_waitcnt lgkmcnt(2)
	v_lshrrev_b32_e32 v32, 16, v26
	v_mul_f16_sdwa v55, v12, v32 dst_sel:DWORD dst_unused:UNUSED_PAD src0_sel:WORD_1 src1_sel:DWORD
	s_waitcnt lgkmcnt(1)
	v_lshrrev_b32_e32 v33, 16, v28
	v_fma_f16 v55, v12, v26, v55
	v_mul_f16_sdwa v26, v12, v26 dst_sel:DWORD dst_unused:UNUSED_PAD src0_sel:WORD_1 src1_sel:DWORD
	v_fma_f16 v12, v12, v32, -v26
	v_mul_f16_sdwa v26, v13, v33 dst_sel:DWORD dst_unused:UNUSED_PAD src0_sel:WORD_1 src1_sel:DWORD
	s_waitcnt lgkmcnt(0)
	v_lshrrev_b32_e32 v34, 16, v30
	v_fma_f16 v26, v13, v28, v26
	v_mul_f16_sdwa v28, v13, v28 dst_sel:DWORD dst_unused:UNUSED_PAD src0_sel:WORD_1 src1_sel:DWORD
	v_fma_f16 v13, v13, v33, -v28
	v_mul_f16_sdwa v28, v14, v34 dst_sel:DWORD dst_unused:UNUSED_PAD src0_sel:WORD_1 src1_sel:DWORD
	v_lshrrev_b32_e32 v52, 16, v27
	v_fma_f16 v28, v14, v30, v28
	v_mul_f16_sdwa v30, v14, v30 dst_sel:DWORD dst_unused:UNUSED_PAD src0_sel:WORD_1 src1_sel:DWORD
	ds_read2_b32 v[24:25], v16 offset1:182
	v_fma_f16 v14, v14, v34, -v30
	v_mul_f16_sdwa v30, v8, v52 dst_sel:DWORD dst_unused:UNUSED_PAD src0_sel:WORD_1 src1_sel:DWORD
	v_lshrrev_b32_e32 v53, 16, v29
	v_fma_f16 v30, v8, v27, v30
	v_mul_f16_sdwa v27, v8, v27 dst_sel:DWORD dst_unused:UNUSED_PAD src0_sel:WORD_1 src1_sel:DWORD
	v_fma_f16 v8, v8, v52, -v27
	v_mul_f16_sdwa v27, v9, v53 dst_sel:DWORD dst_unused:UNUSED_PAD src0_sel:WORD_1 src1_sel:DWORD
	v_lshrrev_b32_e32 v54, 16, v31
	v_fma_f16 v27, v9, v29, v27
	v_mul_f16_sdwa v29, v9, v29 dst_sel:DWORD dst_unused:UNUSED_PAD src0_sel:WORD_1 src1_sel:DWORD
	v_fma_f16 v9, v9, v53, -v29
	v_mul_f16_sdwa v29, v10, v54 dst_sel:DWORD dst_unused:UNUSED_PAD src0_sel:WORD_1 src1_sel:DWORD
	s_waitcnt lgkmcnt(0)
	v_lshrrev_b32_e32 v15, 16, v24
	v_fma_f16 v29, v10, v31, v29
	v_mul_f16_sdwa v31, v10, v31 dst_sel:DWORD dst_unused:UNUSED_PAD src0_sel:WORD_1 src1_sel:DWORD
	v_sub_f16_e32 v26, v24, v26
	v_sub_f16_e32 v28, v55, v28
	v_fma_f16 v10, v10, v54, -v31
	v_sub_f16_e32 v13, v15, v13
	v_fma_f16 v24, v24, 2.0, -v26
	v_sub_f16_e32 v14, v12, v14
	v_fma_f16 v31, v55, 2.0, -v28
	v_lshrrev_b32_e32 v35, 16, v25
	v_fma_f16 v15, v15, 2.0, -v13
	v_fma_f16 v12, v12, 2.0, -v14
	v_sub_f16_e32 v31, v24, v31
	v_sub_f16_e32 v27, v25, v27
	;; [unrolled: 1-line block ×4, first 2 shown]
	v_fma_f16 v32, v24, 2.0, -v31
	v_add_f16_e32 v14, v26, v14
	v_sub_f16_e32 v28, v13, v28
	v_sub_f16_e32 v9, v35, v9
	v_fma_f16 v24, v25, 2.0, -v27
	v_sub_f16_e32 v10, v8, v10
	v_fma_f16 v30, v30, 2.0, -v29
	v_fma_f16 v15, v15, 2.0, -v12
	;; [unrolled: 1-line block ×6, first 2 shown]
	v_sub_f16_e32 v30, v24, v30
	v_sub_f16_e32 v8, v25, v8
	v_fma_f16 v33, v24, 2.0, -v30
	v_add_f16_e32 v10, v27, v10
	v_sub_f16_e32 v24, v9, v29
	v_pack_b32_f16 v15, v32, v15
	v_pack_b32_f16 v13, v26, v13
	v_fma_f16 v25, v25, 2.0, -v8
	v_fma_f16 v27, v27, 2.0, -v10
	;; [unrolled: 1-line block ×3, first 2 shown]
	s_barrier
	ds_write2_b32 v40, v15, v13 offset1:13
	v_pack_b32_f16 v12, v31, v12
	v_pack_b32_f16 v13, v14, v28
	ds_write2_b32 v40, v12, v13 offset0:26 offset1:39
	v_pack_b32_f16 v12, v33, v25
	v_pack_b32_f16 v9, v27, v9
	ds_write2_b32 v41, v12, v9 offset1:13
	v_pack_b32_f16 v8, v30, v8
	v_pack_b32_f16 v9, v10, v24
	v_add_u32_e32 v12, 0x600, v16
	ds_write2_b32 v41, v8, v9 offset0:26 offset1:39
	s_waitcnt lgkmcnt(0)
	s_barrier
	ds_read2_b32 v[14:15], v12 offset0:32 offset1:240
	v_add_u32_e32 v12, 0xd00, v16
	ds_read2_b32 v[8:9], v16 offset1:208
	ds_read2_b32 v[12:13], v12 offset1:208
	ds_read_b32 v25, v16 offset:4992
	s_and_saveexec_b64 s[0:1], s[2:3]
	s_cbranch_execz .LBB0_19
; %bb.18:
	v_add_u32_e32 v10, 0x280, v16
	v_add_u32_e32 v17, 0x900, v16
	ds_read2_b32 v[10:11], v10 offset0:22 offset1:230
	v_add_u32_e32 v24, 0xf80, v16
	ds_read2_b32 v[38:39], v17 offset0:22 offset1:230
	ds_read2_b32 v[36:37], v24 offset0:22 offset1:230
	ds_read_b32 v49, v16 offset:5720
	s_waitcnt lgkmcnt(3)
	v_lshrrev_b32_e32 v24, 16, v10
	v_lshrrev_b32_e32 v69, 16, v11
	s_waitcnt lgkmcnt(2)
	v_lshrrev_b32_e32 v67, 16, v38
	v_lshrrev_b32_e32 v68, 16, v39
	;; [unrolled: 3-line block ×3, first 2 shown]
	s_waitcnt lgkmcnt(0)
	v_lshrrev_b32_e32 v50, 16, v49
.LBB0_19:
	s_or_b64 exec, exec, s[0:1]
	s_waitcnt lgkmcnt(2)
	v_lshrrev_b32_e32 v26, 16, v9
	v_mul_f16_sdwa v32, v4, v26 dst_sel:DWORD dst_unused:UNUSED_PAD src0_sel:WORD_1 src1_sel:DWORD
	v_lshrrev_b32_e32 v27, 16, v14
	v_fma_f16 v32, v4, v9, v32
	v_mul_f16_sdwa v9, v4, v9 dst_sel:DWORD dst_unused:UNUSED_PAD src0_sel:WORD_1 src1_sel:DWORD
	v_fma_f16 v4, v4, v26, -v9
	v_mul_f16_sdwa v9, v5, v27 dst_sel:DWORD dst_unused:UNUSED_PAD src0_sel:WORD_1 src1_sel:DWORD
	v_lshrrev_b32_e32 v28, 16, v15
	v_fma_f16 v9, v5, v14, v9
	v_mul_f16_sdwa v14, v5, v14 dst_sel:DWORD dst_unused:UNUSED_PAD src0_sel:WORD_1 src1_sel:DWORD
	v_fma_f16 v5, v5, v27, -v14
	v_mul_f16_sdwa v14, v6, v28 dst_sel:DWORD dst_unused:UNUSED_PAD src0_sel:WORD_1 src1_sel:DWORD
	s_waitcnt lgkmcnt(1)
	v_lshrrev_b32_e32 v29, 16, v12
	v_fma_f16 v14, v6, v15, v14
	v_mul_f16_sdwa v15, v6, v15 dst_sel:DWORD dst_unused:UNUSED_PAD src0_sel:WORD_1 src1_sel:DWORD
	v_fma_f16 v6, v6, v28, -v15
	v_mul_f16_sdwa v15, v7, v29 dst_sel:DWORD dst_unused:UNUSED_PAD src0_sel:WORD_1 src1_sel:DWORD
	v_lshrrev_b32_e32 v30, 16, v13
	v_fma_f16 v15, v7, v12, v15
	v_mul_f16_sdwa v12, v7, v12 dst_sel:DWORD dst_unused:UNUSED_PAD src0_sel:WORD_1 src1_sel:DWORD
	v_fma_f16 v7, v7, v29, -v12
	v_mul_f16_sdwa v12, v22, v30 dst_sel:DWORD dst_unused:UNUSED_PAD src0_sel:WORD_1 src1_sel:DWORD
	s_waitcnt lgkmcnt(0)
	v_lshrrev_b32_e32 v31, 16, v25
	v_fma_f16 v12, v22, v13, v12
	v_mul_f16_sdwa v13, v22, v13 dst_sel:DWORD dst_unused:UNUSED_PAD src0_sel:WORD_1 src1_sel:DWORD
	v_fma_f16 v13, v22, v30, -v13
	v_mul_f16_sdwa v22, v23, v31 dst_sel:DWORD dst_unused:UNUSED_PAD src0_sel:WORD_1 src1_sel:DWORD
	v_fma_f16 v22, v23, v25, v22
	v_mul_f16_sdwa v25, v23, v25 dst_sel:DWORD dst_unused:UNUSED_PAD src0_sel:WORD_1 src1_sel:DWORD
	v_fma_f16 v23, v23, v31, -v25
	v_add_f16_e32 v25, v32, v22
	v_add_f16_e32 v26, v4, v23
	v_sub_f16_e32 v4, v4, v23
	v_add_f16_e32 v23, v9, v12
	v_add_f16_e32 v27, v5, v13
	v_sub_f16_e32 v9, v9, v12
	v_sub_f16_e32 v5, v5, v13
	v_add_f16_e32 v12, v14, v15
	v_add_f16_e32 v13, v6, v7
	v_sub_f16_e32 v14, v15, v14
	;; [unrolled: 4-line block ×3, first 2 shown]
	v_sub_f16_e32 v28, v23, v25
	v_sub_f16_e32 v29, v27, v26
	;; [unrolled: 1-line block ×6, first 2 shown]
	v_add_f16_e32 v30, v14, v9
	v_add_f16_e32 v31, v6, v5
	v_sub_f16_e32 v32, v14, v9
	v_sub_f16_e32 v33, v6, v5
	v_add_f16_e32 v7, v12, v7
	v_add_f16_e32 v12, v13, v15
	v_sub_f16_e32 v14, v22, v14
	v_sub_f16_e32 v6, v4, v6
	;; [unrolled: 1-line block ×4, first 2 shown]
	v_add_f16_e32 v13, v30, v22
	v_add_f16_e32 v4, v31, v4
	;; [unrolled: 1-line block ×3, first 2 shown]
	v_add_f16_sdwa v8, v8, v12 dst_sel:DWORD dst_unused:UNUSED_PAD src0_sel:WORD_1 src1_sel:DWORD
	v_mul_f16_e32 v22, 0x3a52, v25
	v_mul_f16_e32 v25, 0x3a52, v26
	s_movk_i32 s19, 0x2b26
	v_mul_f16_e32 v26, 0x2b26, v23
	v_mul_f16_e32 v30, 0x2b26, v27
	v_mul_f16_e32 v31, 0x3846, v32
	v_mul_f16_e32 v32, 0x3846, v33
	s_mov_b32 s20, 0xbcab
	s_movk_i32 s7, 0x39e0
	s_mov_b32 s16, 0xb9e0
	s_mov_b32 s21, 0xb574
	;; [unrolled: 1-line block ×3, first 2 shown]
	v_mul_f16_e32 v33, 0xbb00, v9
	v_mul_f16_e32 v34, 0xbb00, v5
	v_fma_f16 v7, v7, s20, v15
	v_fma_f16 v12, v12, s20, v8
	;; [unrolled: 1-line block ×4, first 2 shown]
	v_fma_f16 v26, v28, s7, -v26
	v_fma_f16 v30, v29, s7, -v30
	;; [unrolled: 1-line block ×4, first 2 shown]
	v_fma_f16 v28, v14, s21, v31
	v_fma_f16 v29, v6, s21, v32
	s_movk_i32 s17, 0x3574
	s_mov_b32 s18, 0xb70e
	v_fma_f16 v9, v9, s6, -v31
	v_fma_f16 v5, v5, s6, -v32
	;; [unrolled: 1-line block ×4, first 2 shown]
	v_add_f16_e32 v23, v23, v7
	v_add_f16_e32 v27, v27, v12
	;; [unrolled: 1-line block ×6, first 2 shown]
	v_fma_f16 v22, v13, s18, v28
	v_fma_f16 v25, v4, s18, v29
	;; [unrolled: 1-line block ×6, first 2 shown]
	v_add_f16_e32 v6, v25, v23
	v_sub_f16_e32 v14, v27, v22
	v_add_f16_e32 v28, v4, v7
	v_sub_f16_e32 v29, v12, v13
	v_sub_f16_e32 v31, v26, v5
	v_add_f16_e32 v32, v9, v30
	v_pack_b32_f16 v8, v15, v8
	v_pack_b32_f16 v6, v6, v14
	v_add_f16_e32 v5, v5, v26
	v_sub_f16_e32 v9, v30, v9
	v_sub_f16_e32 v4, v7, v4
	v_add_f16_e32 v7, v13, v12
	s_barrier
	ds_write2_b32 v51, v8, v6 offset1:52
	v_pack_b32_f16 v6, v28, v29
	v_pack_b32_f16 v8, v31, v32
	v_sub_f16_e32 v12, v23, v25
	v_add_f16_e32 v13, v22, v27
	ds_write2_b32 v51, v6, v8 offset0:104 offset1:156
	v_pack_b32_f16 v5, v5, v9
	v_pack_b32_f16 v4, v4, v7
	v_add_u32_e32 v6, 0x200, v51
	ds_write2_b32 v6, v5, v4 offset0:80 offset1:132
	v_pack_b32_f16 v4, v12, v13
	ds_write_b32 v51, v4 offset:1248
	s_and_saveexec_b64 s[0:1], s[2:3]
	s_cbranch_execz .LBB0_21
; %bb.20:
	v_mul_f16_sdwa v5, v21, v50 dst_sel:DWORD dst_unused:UNUSED_PAD src0_sel:WORD_1 src1_sel:DWORD
	v_mul_f16_sdwa v25, v21, v49 dst_sel:DWORD dst_unused:UNUSED_PAD src0_sel:WORD_1 src1_sel:DWORD
	;; [unrolled: 1-line block ×3, first 2 shown]
	v_fma_f16 v5, v21, v49, v5
	v_mul_f16_sdwa v8, v2, v68 dst_sel:DWORD dst_unused:UNUSED_PAD src0_sel:WORD_1 src1_sel:DWORD
	v_mul_f16_sdwa v14, v20, v17 dst_sel:DWORD dst_unused:UNUSED_PAD src0_sel:WORD_1 src1_sel:DWORD
	v_fma_f16 v21, v21, v50, -v25
	v_mul_f16_sdwa v25, v2, v39 dst_sel:DWORD dst_unused:UNUSED_PAD src0_sel:WORD_1 src1_sel:DWORD
	v_mul_f16_sdwa v27, v20, v37 dst_sel:DWORD dst_unused:UNUSED_PAD src0_sel:WORD_1 src1_sel:DWORD
	v_fma_f16 v4, v0, v11, v4
	v_mul_f16_sdwa v7, v3, v66 dst_sel:DWORD dst_unused:UNUSED_PAD src0_sel:WORD_1 src1_sel:DWORD
	v_fma_f16 v8, v2, v39, v8
	v_mul_f16_sdwa v13, v1, v67 dst_sel:DWORD dst_unused:UNUSED_PAD src0_sel:WORD_1 src1_sel:DWORD
	v_fma_f16 v14, v20, v37, v14
	v_mul_f16_sdwa v11, v0, v11 dst_sel:DWORD dst_unused:UNUSED_PAD src0_sel:WORD_1 src1_sel:DWORD
	v_fma_f16 v2, v2, v68, -v25
	v_mul_f16_sdwa v25, v3, v36 dst_sel:DWORD dst_unused:UNUSED_PAD src0_sel:WORD_1 src1_sel:DWORD
	v_fma_f16 v17, v20, v17, -v27
	v_mul_f16_sdwa v20, v1, v38 dst_sel:DWORD dst_unused:UNUSED_PAD src0_sel:WORD_1 src1_sel:DWORD
	v_fma_f16 v7, v3, v36, v7
	v_fma_f16 v13, v1, v38, v13
	v_fma_f16 v0, v0, v69, -v11
	v_fma_f16 v3, v3, v66, -v25
	;; [unrolled: 1-line block ×3, first 2 shown]
	v_add_f16_e32 v11, v21, v0
	v_add_f16_e32 v25, v2, v3
	;; [unrolled: 1-line block ×3, first 2 shown]
	v_sub_f16_e32 v0, v0, v21
	v_sub_f16_e32 v2, v3, v2
	;; [unrolled: 1-line block ×6, first 2 shown]
	v_add_f16_e32 v4, v5, v4
	v_add_f16_e32 v5, v8, v7
	;; [unrolled: 1-line block ×3, first 2 shown]
	v_sub_f16_e32 v3, v0, v2
	v_sub_f16_e32 v17, v2, v1
	v_add_f16_e32 v2, v2, v1
	v_sub_f16_e32 v12, v6, v9
	v_sub_f16_e32 v22, v9, v15
	v_add_f16_e32 v9, v9, v15
	v_add_f16_e32 v29, v20, v11
	;; [unrolled: 1-line block ×4, first 2 shown]
	v_sub_f16_e32 v0, v1, v0
	v_add_f16_e32 v9, v9, v6
	v_sub_f16_e32 v26, v11, v25
	v_sub_f16_e32 v27, v25, v20
	v_add_f16_e32 v25, v25, v29
	v_sub_f16_e32 v7, v4, v5
	v_sub_f16_e32 v13, v5, v8
	v_add_f16_e32 v5, v5, v30
	v_mul_f16_e32 v17, 0x3846, v17
	v_sub_f16_e32 v6, v15, v6
	v_mul_f16_e32 v1, 0xbb00, v0
	v_mul_f16_e32 v22, 0x3846, v22
	;; [unrolled: 1-line block ×4, first 2 shown]
	v_add_f16_e32 v24, v24, v25
	v_mul_f16_e32 v7, 0x3a52, v7
	v_mul_f16_e32 v14, 0x2b26, v13
	v_add_f16_e32 v10, v10, v5
	v_fma_f16 v21, v3, s21, v17
	v_mul_f16_e32 v15, 0xbb00, v6
	v_sub_f16_e32 v11, v20, v11
	v_sub_f16_e32 v4, v8, v4
	v_fma_f16 v1, v3, s17, -v1
	v_fma_f16 v0, v0, s6, -v17
	v_fma_f16 v23, v12, s21, v22
	v_fma_f16 v27, v27, s19, v26
	;; [unrolled: 1-line block ×6, first 2 shown]
	v_fma_f16 v12, v12, s17, -v15
	v_fma_f16 v15, v11, s16, -v26
	;; [unrolled: 1-line block ×3, first 2 shown]
	v_fma_f16 v1, v2, s18, v1
	v_fma_f16 v8, v11, s7, -v28
	v_fma_f16 v6, v6, s6, -v22
	v_fma_f16 v0, v2, s18, v0
	v_fma_f16 v2, v4, s7, -v14
	v_fma_f16 v23, v9, s18, v23
	v_add_f16_e32 v27, v27, v25
	v_add_f16_e32 v13, v13, v5
	v_fma_f16 v12, v9, s18, v12
	v_add_f16_e32 v15, v15, v25
	v_add_f16_e32 v7, v7, v5
	;; [unrolled: 1-line block ×3, first 2 shown]
	v_fma_f16 v6, v9, s18, v6
	v_add_f16_e32 v2, v2, v5
	v_sub_f16_e32 v3, v7, v1
	v_sub_f16_e32 v9, v8, v6
	v_add_f16_e32 v4, v0, v2
	v_add_f16_e32 v5, v6, v8
	v_sub_f16_e32 v0, v2, v0
	v_sub_f16_e32 v2, v15, v12
	v_add_f16_e32 v1, v1, v7
	v_sub_f16_e32 v6, v27, v23
	v_add_f16_e32 v7, v21, v13
	v_add_f16_e32 v20, v12, v15
	v_pack_b32_f16 v6, v7, v6
	v_add_u32_e32 v7, 0x1000, v42
	v_pack_b32_f16 v1, v1, v2
	v_pack_b32_f16 v0, v0, v5
	v_add_f16_e32 v29, v23, v27
	v_sub_f16_e32 v30, v13, v21
	ds_write2_b32 v7, v1, v0 offset0:172 offset1:224
	v_pack_b32_f16 v0, v4, v9
	v_pack_b32_f16 v1, v3, v20
	v_add_u32_e32 v2, 0x1400, v42
	v_pack_b32_f16 v8, v10, v24
	ds_write2_b32 v2, v0, v1 offset0:20 offset1:72
	v_pack_b32_f16 v0, v30, v29
	ds_write2_b32 v7, v8, v6 offset0:68 offset1:120
	ds_write_b32 v42, v0 offset:5616
.LBB0_21:
	s_or_b64 exec, exec, s[0:1]
	v_add_u32_e32 v8, 0xb00, v16
	s_waitcnt lgkmcnt(0)
	s_barrier
	ds_read2_b32 v[2:3], v8 offset0:24 offset1:206
	v_add_u32_e32 v11, 0x1000, v16
	ds_read2_b32 v[6:7], v11 offset0:68 offset1:250
	ds_read2_b32 v[0:1], v16 offset1:182
	v_add_u32_e32 v10, 0x500, v16
	s_waitcnt lgkmcnt(2)
	v_lshrrev_b32_e32 v12, 16, v2
	v_mul_f16_sdwa v22, v43, v12 dst_sel:DWORD dst_unused:UNUSED_PAD src0_sel:WORD_1 src1_sel:DWORD
	v_lshrrev_b32_e32 v14, 16, v3
	v_fma_f16 v22, v43, v2, v22
	v_mul_f16_sdwa v2, v43, v2 dst_sel:DWORD dst_unused:UNUSED_PAD src0_sel:WORD_1 src1_sel:DWORD
	v_fma_f16 v2, v43, v12, -v2
	v_mul_f16_sdwa v12, v44, v14 dst_sel:DWORD dst_unused:UNUSED_PAD src0_sel:WORD_1 src1_sel:DWORD
	s_waitcnt lgkmcnt(1)
	v_lshrrev_b32_e32 v17, 16, v6
	v_fma_f16 v12, v44, v3, v12
	v_mul_f16_sdwa v3, v44, v3 dst_sel:DWORD dst_unused:UNUSED_PAD src0_sel:WORD_1 src1_sel:DWORD
	ds_read2_b32 v[4:5], v10 offset0:44 offset1:226
	v_fma_f16 v3, v44, v14, -v3
	v_mul_f16_sdwa v14, v43, v17 dst_sel:DWORD dst_unused:UNUSED_PAD src0_sel:WORD_1 src1_sel:DWORD
	v_lshrrev_b32_e32 v21, 16, v7
	v_fma_f16 v14, v43, v6, v14
	v_mul_f16_sdwa v6, v43, v6 dst_sel:DWORD dst_unused:UNUSED_PAD src0_sel:WORD_1 src1_sel:DWORD
	v_fma_f16 v6, v43, v17, -v6
	v_mul_f16_sdwa v17, v44, v21 dst_sel:DWORD dst_unused:UNUSED_PAD src0_sel:WORD_1 src1_sel:DWORD
	s_waitcnt lgkmcnt(1)
	v_lshrrev_b32_e32 v9, 16, v0
	v_lshrrev_b32_e32 v13, 16, v1
	v_fma_f16 v17, v44, v7, v17
	v_mul_f16_sdwa v7, v44, v7 dst_sel:DWORD dst_unused:UNUSED_PAD src0_sel:WORD_1 src1_sel:DWORD
	v_fma_f16 v7, v44, v21, -v7
	v_sub_f16_e32 v21, v0, v22
	v_sub_f16_e32 v2, v9, v2
	;; [unrolled: 1-line block ×4, first 2 shown]
	s_waitcnt lgkmcnt(0)
	v_lshrrev_b32_e32 v15, 16, v4
	v_lshrrev_b32_e32 v20, 16, v5
	v_fma_f16 v0, v0, 2.0, -v21
	v_fma_f16 v9, v9, 2.0, -v2
	;; [unrolled: 1-line block ×4, first 2 shown]
	v_sub_f16_e32 v14, v4, v14
	v_sub_f16_e32 v6, v15, v6
	v_sub_f16_e32 v17, v5, v17
	v_sub_f16_e32 v7, v20, v7
	v_pack_b32_f16 v0, v0, v9
	v_pack_b32_f16 v1, v1, v13
	v_fma_f16 v4, v4, 2.0, -v14
	v_fma_f16 v15, v15, 2.0, -v6
	;; [unrolled: 1-line block ×4, first 2 shown]
	s_barrier
	v_pack_b32_f16 v2, v21, v2
	ds_write2_b32 v16, v0, v1 offset1:182
	v_pack_b32_f16 v0, v12, v3
	ds_write2_b32 v10, v2, v0 offset0:44 offset1:226
	v_pack_b32_f16 v0, v4, v15
	v_pack_b32_f16 v2, v5, v20
	;; [unrolled: 1-line block ×3, first 2 shown]
	ds_write2_b32 v8, v0, v2 offset0:24 offset1:206
	v_pack_b32_f16 v0, v17, v7
	ds_write2_b32 v11, v1, v0 offset0:68 offset1:250
	s_waitcnt lgkmcnt(0)
	s_barrier
	ds_read2_b32 v[0:1], v16 offset1:182
	ds_read2_b32 v[2:3], v8 offset0:24 offset1:206
	ds_read2_b32 v[4:5], v10 offset0:44 offset1:226
	;; [unrolled: 1-line block ×3, first 2 shown]
	s_movk_i32 s17, 0x1000
	s_waitcnt lgkmcnt(3)
	v_lshrrev_b32_e32 v9, 16, v0
	s_waitcnt lgkmcnt(2)
	v_lshrrev_b32_e32 v12, 16, v2
	v_mul_f16_sdwa v22, v45, v12 dst_sel:DWORD dst_unused:UNUSED_PAD src0_sel:WORD_1 src1_sel:DWORD
	v_lshrrev_b32_e32 v14, 16, v3
	v_fma_f16 v22, v45, v2, v22
	v_mul_f16_sdwa v2, v45, v2 dst_sel:DWORD dst_unused:UNUSED_PAD src0_sel:WORD_1 src1_sel:DWORD
	v_fma_f16 v2, v45, v12, -v2
	v_mul_f16_sdwa v12, v46, v14 dst_sel:DWORD dst_unused:UNUSED_PAD src0_sel:WORD_1 src1_sel:DWORD
	s_waitcnt lgkmcnt(0)
	v_lshrrev_b32_e32 v17, 16, v6
	v_fma_f16 v12, v46, v3, v12
	v_mul_f16_sdwa v3, v46, v3 dst_sel:DWORD dst_unused:UNUSED_PAD src0_sel:WORD_1 src1_sel:DWORD
	v_fma_f16 v3, v46, v14, -v3
	v_mul_f16_sdwa v14, v47, v17 dst_sel:DWORD dst_unused:UNUSED_PAD src0_sel:WORD_1 src1_sel:DWORD
	v_lshrrev_b32_e32 v21, 16, v7
	v_fma_f16 v14, v47, v6, v14
	v_mul_f16_sdwa v6, v47, v6 dst_sel:DWORD dst_unused:UNUSED_PAD src0_sel:WORD_1 src1_sel:DWORD
	v_fma_f16 v6, v47, v17, -v6
	v_mul_f16_sdwa v17, v48, v21 dst_sel:DWORD dst_unused:UNUSED_PAD src0_sel:WORD_1 src1_sel:DWORD
	v_lshrrev_b32_e32 v13, 16, v1
	v_fma_f16 v17, v48, v7, v17
	v_mul_f16_sdwa v7, v48, v7 dst_sel:DWORD dst_unused:UNUSED_PAD src0_sel:WORD_1 src1_sel:DWORD
	v_fma_f16 v7, v48, v21, -v7
	v_sub_f16_e32 v21, v0, v22
	v_sub_f16_e32 v2, v9, v2
	;; [unrolled: 1-line block ×4, first 2 shown]
	v_lshrrev_b32_e32 v15, 16, v4
	v_lshrrev_b32_e32 v20, 16, v5
	v_fma_f16 v0, v0, 2.0, -v21
	v_fma_f16 v9, v9, 2.0, -v2
	;; [unrolled: 1-line block ×4, first 2 shown]
	v_sub_f16_e32 v14, v4, v14
	v_sub_f16_e32 v6, v15, v6
	;; [unrolled: 1-line block ×4, first 2 shown]
	v_pack_b32_f16 v0, v0, v9
	v_pack_b32_f16 v1, v1, v13
	v_fma_f16 v4, v4, 2.0, -v14
	v_fma_f16 v15, v15, 2.0, -v6
	;; [unrolled: 1-line block ×4, first 2 shown]
	v_pack_b32_f16 v2, v21, v2
	ds_write2_b32 v16, v0, v1 offset1:182
	v_pack_b32_f16 v0, v12, v3
	ds_write2_b32 v8, v2, v0 offset0:24 offset1:206
	v_pack_b32_f16 v0, v4, v15
	v_pack_b32_f16 v2, v5, v20
	;; [unrolled: 1-line block ×3, first 2 shown]
	ds_write2_b32 v10, v0, v2 offset0:44 offset1:226
	v_pack_b32_f16 v0, v17, v7
	ds_write2_b32 v11, v1, v0 offset0:68 offset1:250
	s_waitcnt lgkmcnt(0)
	s_barrier
	s_and_b64 exec, exec, s[4:5]
	s_cbranch_execz .LBB0_23
; %bb.22:
	global_load_dword v9, v16, s[12:13]
	ds_read_b32 v14, v16
	global_load_dword v7, v16, s[12:13] offset:448
	global_load_dword v10, v16, s[12:13] offset:896
	;; [unrolled: 1-line block ×6, first 2 shown]
	v_mad_u64_u32 v[4:5], s[0:1], s10, v18, 0
	v_mov_b32_e32 v20, v5
	s_waitcnt lgkmcnt(0)
	v_lshrrev_b32_e32 v5, 16, v14
	v_mov_b32_e32 v17, 0
	v_lshl_add_u64 v[0:1], s[12:13], 0, v[16:17]
	s_mov_b32 s6, 0x16816817
	s_mov_b32 s7, 0x3f468168
	s_movk_i32 s10, 0x1ff
	s_mov_b32 s16, 0x8000
	v_mov_b32_e32 v2, s14
	s_movk_i32 s14, 0xffe
	v_mov_b32_e32 v8, 0x7c00
	v_mov_b32_e32 v3, s15
	s_movk_i32 s15, 0x40f
	s_waitcnt vmcnt(6)
	v_mul_f16_sdwa v15, v5, v9 dst_sel:DWORD dst_unused:UNUSED_PAD src0_sel:DWORD src1_sel:WORD_1
	v_mul_f16_sdwa v17, v14, v9 dst_sel:DWORD dst_unused:UNUSED_PAD src0_sel:DWORD src1_sel:WORD_1
	v_fma_f16 v14, v14, v9, v15
	v_fma_f16 v5, v9, v5, -v17
	v_cvt_f32_f16_e32 v9, v14
	v_cvt_f32_f16_e32 v17, v5
	v_mad_u64_u32 v[14:15], s[0:1], s11, v18, v[20:21]
	v_mov_b32_e32 v5, v14
	v_cvt_f64_f32_e32 v[14:15], v9
	v_cvt_f64_f32_e32 v[20:21], v17
	v_mul_f64 v[14:15], v[14:15], s[6:7]
	v_mul_f64 v[20:21], v[20:21], s[6:7]
	v_and_or_b32 v9, v15, s10, v14
	v_lshrrev_b32_e32 v14, 8, v15
	v_bfe_u32 v17, v15, 20, 11
	v_and_b32_sdwa v24, v15, s16 dst_sel:DWORD dst_unused:UNUSED_PAD src0_sel:WORD_1 src1_sel:DWORD
	v_and_or_b32 v15, v21, s10, v20
	v_cmp_ne_u32_e32 vcc, 0, v9
	v_lshrrev_b32_e32 v18, 8, v21
	v_bfe_u32 v20, v21, 20, 11
	v_cndmask_b32_e64 v9, 0, 1, vcc
	v_cmp_ne_u32_e32 vcc, 0, v15
	v_sub_u32_e32 v22, 0x3f1, v17
	v_and_or_b32 v9, v14, s14, v9
	v_cndmask_b32_e64 v15, 0, 1, vcc
	v_sub_u32_e32 v23, 0x3f1, v20
	v_med3_i32 v14, v22, 0, 13
	v_and_or_b32 v15, v18, s14, v15
	v_or_b32_e32 v22, 0x1000, v9
	v_add_u32_e32 v17, 0xfffffc10, v17
	v_med3_i32 v18, v23, 0, 13
	v_cmp_ne_u32_e32 vcc, 0, v9
	v_or_b32_e32 v25, 0x1000, v15
	v_lshrrev_b32_e32 v27, v14, v22
	v_add_u32_e32 v20, 0xfffffc10, v20
	v_lshl_or_b32 v23, v17, 12, v9
	v_cndmask_b32_e64 v9, 0, 1, vcc
	v_cmp_ne_u32_e32 vcc, 0, v15
	v_lshrrev_b32_e32 v28, v18, v25
	v_lshlrev_b32_e32 v14, v14, v27
	v_lshl_or_b32 v26, v20, 12, v15
	v_cndmask_b32_e64 v15, 0, 1, vcc
	v_lshlrev_b32_e32 v18, v18, v28
	v_cmp_ne_u32_e32 vcc, v14, v22
	v_lshl_or_b32 v9, v9, 9, v8
	v_lshl_or_b32 v15, v15, 9, v8
	v_cndmask_b32_e64 v14, 0, 1, vcc
	v_cmp_ne_u32_e32 vcc, v18, v25
	v_or_b32_e32 v14, v27, v14
	v_lshrrev_b32_e32 v21, 16, v21
	v_cndmask_b32_e64 v18, 0, 1, vcc
	v_cmp_gt_i32_e32 vcc, 1, v17
	v_or_b32_e32 v18, v28, v18
	v_lshl_add_u64 v[2:3], v[4:5], 2, v[2:3]
	v_cndmask_b32_e32 v14, v23, v14, vcc
	v_cmp_gt_i32_e32 vcc, 1, v20
	v_and_b32_e32 v22, 7, v14
	v_cmp_eq_u32_e64 s[0:1], 3, v22
	v_cndmask_b32_e32 v18, v26, v18, vcc
	v_cmp_lt_i32_e32 vcc, 5, v22
	v_lshrrev_b32_e32 v14, 2, v14
	v_and_b32_e32 v23, 7, v18
	s_or_b64 vcc, s[0:1], vcc
	v_cmp_lt_i32_e64 s[2:3], 5, v23
	v_cmp_eq_u32_e64 s[4:5], 3, v23
	v_addc_co_u32_e32 v14, vcc, 0, v14, vcc
	v_lshrrev_b32_e32 v18, 2, v18
	s_or_b64 vcc, s[4:5], s[2:3]
	v_addc_co_u32_e32 v18, vcc, 0, v18, vcc
	v_cmp_gt_i32_e32 vcc, 31, v17
	ds_read2_b32 v[22:23], v16 offset0:112 offset1:224
	s_mov_b32 s2, 0xffff
	v_cndmask_b32_e32 v14, v8, v14, vcc
	v_cmp_gt_i32_e32 vcc, 31, v20
	s_mul_i32 s3, s9, 0x1c0
	s_nop 0
	v_cndmask_b32_e32 v18, v8, v18, vcc
	v_cmp_eq_u32_e32 vcc, s15, v17
	s_nop 1
	v_cndmask_b32_e32 v9, v14, v9, vcc
	v_cmp_eq_u32_e32 vcc, s15, v20
	v_bitop3_b32 v9, v24, s2, v9 bitop3:0xc8
	s_nop 0
	v_cndmask_b32_e32 v14, v18, v15, vcc
	v_and_or_b32 v17, v21, s16, v14
	v_mad_u64_u32 v[14:15], s[0:1], s8, v19, 0
	v_mov_b32_e32 v18, v15
	v_lshl_or_b32 v9, v17, 16, v9
	s_waitcnt lgkmcnt(0)
	v_lshrrev_b32_e32 v17, 16, v22
	v_mad_u64_u32 v[20:21], s[0:1], s9, v19, v[18:19]
	s_waitcnt vmcnt(5)
	v_mul_f16_sdwa v18, v17, v7 dst_sel:DWORD dst_unused:UNUSED_PAD src0_sel:DWORD src1_sel:WORD_1
	v_fma_f16 v18, v22, v7, v18
	v_cvt_f32_f16_e32 v18, v18
	v_mov_b32_e32 v15, v20
	v_lshl_add_u64 v[4:5], v[14:15], 2, v[2:3]
	global_store_dword v[4:5], v9, off
	v_cvt_f64_f32_e32 v[14:15], v18
	v_mul_f64 v[14:15], v[14:15], s[6:7]
	v_and_or_b32 v9, v15, s10, v14
	v_cmp_ne_u32_e32 vcc, 0, v9
	v_lshrrev_b32_e32 v14, 8, v15
	v_bfe_u32 v18, v15, 20, 11
	v_cndmask_b32_e64 v9, 0, 1, vcc
	v_and_or_b32 v9, v14, s14, v9
	v_sub_u32_e32 v20, 0x3f1, v18
	v_or_b32_e32 v14, 0x1000, v9
	v_med3_i32 v20, v20, 0, 13
	v_lshrrev_b32_e32 v21, v20, v14
	v_lshlrev_b32_e32 v20, v20, v21
	v_cmp_ne_u32_e32 vcc, v20, v14
	v_add_u32_e32 v18, 0xfffffc10, v18
	v_lshl_or_b32 v20, v18, 12, v9
	v_cndmask_b32_e64 v14, 0, 1, vcc
	v_or_b32_e32 v14, v21, v14
	v_cmp_gt_i32_e32 vcc, 1, v18
	s_nop 1
	v_cndmask_b32_e32 v14, v20, v14, vcc
	v_and_b32_e32 v20, 7, v14
	v_cmp_lt_i32_e32 vcc, 5, v20
	v_cmp_eq_u32_e64 s[0:1], 3, v20
	v_lshrrev_b32_e32 v14, 2, v14
	s_or_b64 vcc, s[0:1], vcc
	v_mul_f16_sdwa v20, v22, v7 dst_sel:DWORD dst_unused:UNUSED_PAD src0_sel:DWORD src1_sel:WORD_1
	v_addc_co_u32_e32 v14, vcc, 0, v14, vcc
	v_fma_f16 v7, v7, v17, -v20
	v_cmp_gt_i32_e32 vcc, 31, v18
	v_cvt_f32_f16_e32 v7, v7
	v_and_b32_sdwa v17, v15, s16 dst_sel:DWORD dst_unused:UNUSED_PAD src0_sel:WORD_1 src1_sel:DWORD
	v_cndmask_b32_e32 v14, v8, v14, vcc
	v_cmp_ne_u32_e32 vcc, 0, v9
	s_nop 1
	v_cndmask_b32_e64 v9, 0, 1, vcc
	v_lshl_or_b32 v9, v9, 9, v8
	v_cmp_eq_u32_e32 vcc, s15, v18
	s_nop 1
	v_cndmask_b32_e32 v9, v14, v9, vcc
	v_cvt_f64_f32_e32 v[14:15], v7
	v_mul_f64 v[14:15], v[14:15], s[6:7]
	v_and_or_b32 v7, v15, s10, v14
	v_cmp_ne_u32_e32 vcc, 0, v7
	v_lshrrev_b32_e32 v14, 8, v15
	v_bfe_u32 v18, v15, 20, 11
	v_cndmask_b32_e64 v7, 0, 1, vcc
	v_and_or_b32 v7, v14, s14, v7
	v_sub_u32_e32 v20, 0x3f1, v18
	v_or_b32_e32 v14, 0x1000, v7
	v_med3_i32 v20, v20, 0, 13
	v_lshrrev_b32_e32 v21, v20, v14
	v_lshlrev_b32_e32 v20, v20, v21
	v_cmp_ne_u32_e32 vcc, v20, v14
	v_add_u32_e32 v18, 0xfffffc10, v18
	v_lshl_or_b32 v20, v18, 12, v7
	v_cndmask_b32_e64 v14, 0, 1, vcc
	v_or_b32_e32 v14, v21, v14
	v_cmp_gt_i32_e32 vcc, 1, v18
	v_bitop3_b32 v9, v17, s2, v9 bitop3:0xc8
	v_lshrrev_b32_e32 v17, 16, v23
	v_cndmask_b32_e32 v14, v20, v14, vcc
	v_and_b32_e32 v20, 7, v14
	v_cmp_lt_i32_e32 vcc, 5, v20
	v_cmp_eq_u32_e64 s[0:1], 3, v20
	v_lshrrev_b32_e32 v14, 2, v14
	s_or_b64 vcc, s[0:1], vcc
	v_addc_co_u32_e32 v14, vcc, 0, v14, vcc
	v_cmp_gt_i32_e32 vcc, 31, v18
	s_nop 1
	v_cndmask_b32_e32 v14, v8, v14, vcc
	v_cmp_ne_u32_e32 vcc, 0, v7
	s_nop 1
	v_cndmask_b32_e64 v7, 0, 1, vcc
	v_lshl_or_b32 v7, v7, 9, v8
	v_cmp_eq_u32_e32 vcc, s15, v18
	s_nop 1
	v_cndmask_b32_e32 v7, v14, v7, vcc
	v_lshrrev_b32_e32 v14, 16, v15
	v_and_or_b32 v7, v14, s16, v7
	s_waitcnt vmcnt(5)
	v_mul_f16_sdwa v14, v17, v10 dst_sel:DWORD dst_unused:UNUSED_PAD src0_sel:DWORD src1_sel:WORD_1
	v_fma_f16 v14, v23, v10, v14
	v_cvt_f32_f16_e32 v14, v14
	v_lshl_or_b32 v7, v7, 16, v9
	v_mov_b32_e32 v9, 0x1c0
	v_mad_u64_u32 v[4:5], s[0:1], s8, v9, v[4:5]
	v_cvt_f64_f32_e32 v[14:15], v14
	v_add_u32_e32 v5, s3, v5
	v_mul_f64 v[14:15], v[14:15], s[6:7]
	global_store_dword v[4:5], v7, off
	v_and_or_b32 v7, v15, s10, v14
	v_cmp_ne_u32_e32 vcc, 0, v7
	v_lshrrev_b32_e32 v14, 8, v15
	v_bfe_u32 v18, v15, 20, 11
	v_cndmask_b32_e64 v7, 0, 1, vcc
	v_and_or_b32 v7, v14, s14, v7
	v_sub_u32_e32 v20, 0x3f1, v18
	v_or_b32_e32 v14, 0x1000, v7
	v_med3_i32 v20, v20, 0, 13
	v_lshrrev_b32_e32 v21, v20, v14
	v_lshlrev_b32_e32 v20, v20, v21
	v_cmp_ne_u32_e32 vcc, v20, v14
	v_add_u32_e32 v18, 0xfffffc10, v18
	v_lshl_or_b32 v20, v18, 12, v7
	v_cndmask_b32_e64 v14, 0, 1, vcc
	v_or_b32_e32 v14, v21, v14
	v_cmp_gt_i32_e32 vcc, 1, v18
	s_nop 1
	v_cndmask_b32_e32 v14, v20, v14, vcc
	v_and_b32_e32 v20, 7, v14
	v_cmp_lt_i32_e32 vcc, 5, v20
	v_cmp_eq_u32_e64 s[0:1], 3, v20
	v_lshrrev_b32_e32 v14, 2, v14
	s_or_b64 vcc, s[0:1], vcc
	v_mul_f16_sdwa v20, v23, v10 dst_sel:DWORD dst_unused:UNUSED_PAD src0_sel:DWORD src1_sel:WORD_1
	v_addc_co_u32_e32 v14, vcc, 0, v14, vcc
	v_fma_f16 v10, v10, v17, -v20
	v_cmp_gt_i32_e32 vcc, 31, v18
	v_cvt_f32_f16_e32 v10, v10
	v_and_b32_sdwa v17, v15, s16 dst_sel:DWORD dst_unused:UNUSED_PAD src0_sel:WORD_1 src1_sel:DWORD
	v_cndmask_b32_e32 v14, v8, v14, vcc
	v_cmp_ne_u32_e32 vcc, 0, v7
	s_nop 1
	v_cndmask_b32_e64 v7, 0, 1, vcc
	v_lshl_or_b32 v7, v7, 9, v8
	v_cmp_eq_u32_e32 vcc, s15, v18
	s_nop 1
	v_cndmask_b32_e32 v7, v14, v7, vcc
	v_cvt_f64_f32_e32 v[14:15], v10
	v_mul_f64 v[14:15], v[14:15], s[6:7]
	v_and_or_b32 v10, v15, s10, v14
	v_cmp_ne_u32_e32 vcc, 0, v10
	v_lshrrev_b32_e32 v14, 8, v15
	v_bfe_u32 v18, v15, 20, 11
	v_cndmask_b32_e64 v10, 0, 1, vcc
	v_and_or_b32 v10, v14, s14, v10
	v_sub_u32_e32 v20, 0x3f1, v18
	v_or_b32_e32 v14, 0x1000, v10
	v_med3_i32 v20, v20, 0, 13
	v_lshrrev_b32_e32 v21, v20, v14
	v_lshlrev_b32_e32 v20, v20, v21
	v_cmp_ne_u32_e32 vcc, v20, v14
	v_add_u32_e32 v18, 0xfffffc10, v18
	v_lshl_or_b32 v20, v18, 12, v10
	v_cndmask_b32_e64 v14, 0, 1, vcc
	v_or_b32_e32 v14, v21, v14
	v_cmp_gt_i32_e32 vcc, 1, v18
	v_bitop3_b32 v7, v17, s2, v7 bitop3:0xc8
	s_nop 0
	v_cndmask_b32_e32 v14, v20, v14, vcc
	v_and_b32_e32 v20, 7, v14
	v_cmp_lt_i32_e32 vcc, 5, v20
	v_cmp_eq_u32_e64 s[0:1], 3, v20
	v_lshrrev_b32_e32 v14, 2, v14
	s_or_b64 vcc, s[0:1], vcc
	v_addc_co_u32_e32 v14, vcc, 0, v14, vcc
	v_cmp_gt_i32_e32 vcc, 31, v18
	v_mad_u64_u32 v[4:5], s[0:1], s8, v9, v[4:5]
	s_nop 0
	v_cndmask_b32_e32 v14, v8, v14, vcc
	v_cmp_ne_u32_e32 vcc, 0, v10
	v_add_u32_e32 v5, s3, v5
	s_nop 0
	v_cndmask_b32_e64 v10, 0, 1, vcc
	v_lshl_or_b32 v10, v10, 9, v8
	v_cmp_eq_u32_e32 vcc, s15, v18
	s_nop 1
	v_cndmask_b32_e32 v10, v14, v10, vcc
	v_add_u32_e32 v14, 0x400, v16
	ds_read2_b32 v[20:21], v14 offset0:80 offset1:192
	v_lshrrev_b32_e32 v14, 16, v15
	v_and_or_b32 v10, v14, s16, v10
	v_lshl_or_b32 v7, v10, 16, v7
	global_store_dword v[4:5], v7, off
	s_waitcnt lgkmcnt(0)
	v_lshrrev_b32_e32 v10, 16, v20
	s_waitcnt vmcnt(6)
	v_mul_f16_sdwa v14, v10, v11 dst_sel:DWORD dst_unused:UNUSED_PAD src0_sel:DWORD src1_sel:WORD_1
	v_fma_f16 v14, v20, v11, v14
	v_cvt_f32_f16_e32 v14, v14
	v_cvt_f64_f32_e32 v[14:15], v14
	v_mul_f64 v[14:15], v[14:15], s[6:7]
	v_and_or_b32 v7, v15, s10, v14
	v_cmp_ne_u32_e32 vcc, 0, v7
	v_lshrrev_b32_e32 v14, 8, v15
	v_bfe_u32 v17, v15, 20, 11
	v_cndmask_b32_e64 v7, 0, 1, vcc
	v_and_or_b32 v7, v14, s14, v7
	v_sub_u32_e32 v18, 0x3f1, v17
	v_or_b32_e32 v14, 0x1000, v7
	v_med3_i32 v18, v18, 0, 13
	v_lshrrev_b32_e32 v22, v18, v14
	v_lshlrev_b32_e32 v18, v18, v22
	v_cmp_ne_u32_e32 vcc, v18, v14
	v_add_u32_e32 v17, 0xfffffc10, v17
	v_lshl_or_b32 v18, v17, 12, v7
	v_cndmask_b32_e64 v14, 0, 1, vcc
	v_or_b32_e32 v14, v22, v14
	v_cmp_gt_i32_e32 vcc, 1, v17
	s_nop 1
	v_cndmask_b32_e32 v14, v18, v14, vcc
	v_and_b32_e32 v18, 7, v14
	v_cmp_lt_i32_e32 vcc, 5, v18
	v_cmp_eq_u32_e64 s[0:1], 3, v18
	v_mul_f16_sdwa v18, v20, v11 dst_sel:DWORD dst_unused:UNUSED_PAD src0_sel:DWORD src1_sel:WORD_1
	v_fma_f16 v10, v11, v10, -v18
	v_cvt_f32_f16_e32 v10, v10
	v_lshrrev_b32_e32 v14, 2, v14
	s_or_b64 vcc, s[0:1], vcc
	v_addc_co_u32_e32 v14, vcc, 0, v14, vcc
	v_cmp_gt_i32_e32 vcc, 31, v17
	v_cvt_f64_f32_e32 v[10:11], v10
	v_mul_f64 v[10:11], v[10:11], s[6:7]
	v_cndmask_b32_e32 v14, v8, v14, vcc
	v_cmp_ne_u32_e32 vcc, 0, v7
	v_and_or_b32 v10, v11, s10, v10
	s_nop 0
	v_cndmask_b32_e64 v7, 0, 1, vcc
	v_lshl_or_b32 v7, v7, 9, v8
	v_cmp_eq_u32_e32 vcc, s15, v17
	v_bfe_u32 v17, v11, 20, 11
	v_sub_u32_e32 v18, 0x3f1, v17
	v_cndmask_b32_e32 v7, v14, v7, vcc
	v_cmp_ne_u32_e32 vcc, 0, v10
	v_and_b32_sdwa v14, v15, s16 dst_sel:DWORD dst_unused:UNUSED_PAD src0_sel:WORD_1 src1_sel:DWORD
	v_lshrrev_b32_e32 v15, 8, v11
	v_cndmask_b32_e64 v10, 0, 1, vcc
	v_and_or_b32 v10, v15, s14, v10
	v_or_b32_e32 v15, 0x1000, v10
	v_med3_i32 v18, v18, 0, 13
	v_lshrrev_b32_e32 v20, v18, v15
	v_lshlrev_b32_e32 v18, v18, v20
	v_cmp_ne_u32_e32 vcc, v18, v15
	v_add_u32_e32 v17, 0xfffffc10, v17
	v_lshl_or_b32 v18, v17, 12, v10
	v_cndmask_b32_e64 v15, 0, 1, vcc
	v_or_b32_e32 v15, v20, v15
	v_cmp_gt_i32_e32 vcc, 1, v17
	v_lshrrev_b32_e32 v11, 16, v11
	v_bitop3_b32 v7, v14, s2, v7 bitop3:0xc8
	v_cndmask_b32_e32 v15, v18, v15, vcc
	v_and_b32_e32 v18, 7, v15
	v_cmp_lt_i32_e32 vcc, 5, v18
	v_cmp_eq_u32_e64 s[0:1], 3, v18
	v_lshrrev_b32_e32 v15, 2, v15
	s_or_b64 vcc, s[0:1], vcc
	v_addc_co_u32_e32 v15, vcc, 0, v15, vcc
	v_cmp_gt_i32_e32 vcc, 31, v17
	v_lshrrev_b32_e32 v14, 16, v21
	v_mad_u64_u32 v[4:5], s[0:1], s8, v9, v[4:5]
	v_cndmask_b32_e32 v15, v8, v15, vcc
	v_cmp_ne_u32_e32 vcc, 0, v10
	v_add_u32_e32 v5, s3, v5
	s_nop 0
	v_cndmask_b32_e64 v10, 0, 1, vcc
	v_lshl_or_b32 v10, v10, 9, v8
	v_cmp_eq_u32_e32 vcc, s15, v17
	s_nop 1
	v_cndmask_b32_e32 v10, v15, v10, vcc
	v_and_or_b32 v10, v11, s16, v10
	v_lshl_or_b32 v7, v10, 16, v7
	s_waitcnt vmcnt(5)
	v_mul_f16_sdwa v10, v14, v12 dst_sel:DWORD dst_unused:UNUSED_PAD src0_sel:DWORD src1_sel:WORD_1
	v_fma_f16 v10, v21, v12, v10
	v_cvt_f32_f16_e32 v10, v10
	global_store_dword v[4:5], v7, off
	v_cvt_f64_f32_e32 v[10:11], v10
	v_mul_f64 v[10:11], v[10:11], s[6:7]
	v_and_or_b32 v7, v11, s10, v10
	v_cmp_ne_u32_e32 vcc, 0, v7
	v_lshrrev_b32_e32 v10, 8, v11
	v_bfe_u32 v15, v11, 20, 11
	v_cndmask_b32_e64 v7, 0, 1, vcc
	v_and_or_b32 v7, v10, s14, v7
	v_sub_u32_e32 v17, 0x3f1, v15
	v_or_b32_e32 v10, 0x1000, v7
	v_med3_i32 v17, v17, 0, 13
	v_lshrrev_b32_e32 v18, v17, v10
	v_lshlrev_b32_e32 v17, v17, v18
	v_cmp_ne_u32_e32 vcc, v17, v10
	v_add_u32_e32 v15, 0xfffffc10, v15
	v_lshl_or_b32 v17, v15, 12, v7
	v_cndmask_b32_e64 v10, 0, 1, vcc
	v_or_b32_e32 v10, v18, v10
	v_cmp_gt_i32_e32 vcc, 1, v15
	s_nop 1
	v_cndmask_b32_e32 v10, v17, v10, vcc
	v_and_b32_e32 v17, 7, v10
	v_cmp_lt_i32_e32 vcc, 5, v17
	v_cmp_eq_u32_e64 s[0:1], 3, v17
	v_lshrrev_b32_e32 v10, 2, v10
	s_or_b64 vcc, s[0:1], vcc
	v_mul_f16_sdwa v17, v21, v12 dst_sel:DWORD dst_unused:UNUSED_PAD src0_sel:DWORD src1_sel:WORD_1
	v_addc_co_u32_e32 v10, vcc, 0, v10, vcc
	v_fma_f16 v12, v12, v14, -v17
	v_cmp_gt_i32_e32 vcc, 31, v15
	v_cvt_f32_f16_e32 v12, v12
	v_and_b32_sdwa v17, v11, s16 dst_sel:DWORD dst_unused:UNUSED_PAD src0_sel:WORD_1 src1_sel:DWORD
	v_cndmask_b32_e32 v10, v8, v10, vcc
	v_cmp_ne_u32_e32 vcc, 0, v7
	s_nop 1
	v_cndmask_b32_e64 v7, 0, 1, vcc
	v_lshl_or_b32 v7, v7, 9, v8
	v_cmp_eq_u32_e32 vcc, s15, v15
	s_nop 1
	v_cndmask_b32_e32 v7, v10, v7, vcc
	v_cvt_f64_f32_e32 v[10:11], v12
	v_mul_f64 v[10:11], v[10:11], s[6:7]
	v_and_or_b32 v10, v11, s10, v10
	v_cmp_ne_u32_e32 vcc, 0, v10
	v_lshrrev_b32_e32 v12, 8, v11
	v_bfe_u32 v14, v11, 20, 11
	v_cndmask_b32_e64 v10, 0, 1, vcc
	v_and_or_b32 v10, v12, s14, v10
	v_sub_u32_e32 v15, 0x3f1, v14
	v_or_b32_e32 v12, 0x1000, v10
	v_med3_i32 v15, v15, 0, 13
	v_lshrrev_b32_e32 v18, v15, v12
	v_lshlrev_b32_e32 v15, v15, v18
	v_cmp_ne_u32_e32 vcc, v15, v12
	v_add_u32_e32 v14, 0xfffffc10, v14
	v_lshl_or_b32 v15, v14, 12, v10
	v_cndmask_b32_e64 v12, 0, 1, vcc
	v_or_b32_e32 v12, v18, v12
	v_cmp_gt_i32_e32 vcc, 1, v14
	v_lshrrev_b32_e32 v11, 16, v11
	v_bitop3_b32 v7, v17, s2, v7 bitop3:0xc8
	v_cndmask_b32_e32 v12, v15, v12, vcc
	v_and_b32_e32 v15, 7, v12
	v_cmp_lt_i32_e32 vcc, 5, v15
	v_cmp_eq_u32_e64 s[0:1], 3, v15
	v_lshrrev_b32_e32 v12, 2, v12
	s_or_b64 vcc, s[0:1], vcc
	v_addc_co_u32_e32 v12, vcc, 0, v12, vcc
	v_cmp_gt_i32_e32 vcc, 31, v14
	v_mad_u64_u32 v[4:5], s[0:1], s8, v9, v[4:5]
	s_nop 0
	v_cndmask_b32_e32 v12, v8, v12, vcc
	v_cmp_ne_u32_e32 vcc, 0, v10
	v_add_u32_e32 v5, s3, v5
	s_nop 0
	v_cndmask_b32_e64 v10, 0, 1, vcc
	v_lshl_or_b32 v10, v10, 9, v8
	v_cmp_eq_u32_e32 vcc, s15, v14
	s_nop 1
	v_cndmask_b32_e32 v10, v12, v10, vcc
	v_add_u32_e32 v12, 0x800, v16
	ds_read2_b32 v[14:15], v12 offset0:48 offset1:160
	v_and_or_b32 v10, v11, s16, v10
	v_lshl_or_b32 v7, v10, 16, v7
	global_store_dword v[4:5], v7, off
	s_waitcnt lgkmcnt(0)
	v_lshrrev_b32_e32 v12, 16, v14
	s_waitcnt vmcnt(6)
	v_mul_f16_sdwa v10, v12, v13 dst_sel:DWORD dst_unused:UNUSED_PAD src0_sel:DWORD src1_sel:WORD_1
	v_fma_f16 v10, v14, v13, v10
	v_cvt_f32_f16_e32 v10, v10
	v_mul_f16_sdwa v14, v14, v13 dst_sel:DWORD dst_unused:UNUSED_PAD src0_sel:DWORD src1_sel:WORD_1
	v_fma_f16 v12, v13, v12, -v14
	v_cvt_f32_f16_e32 v12, v12
	v_cvt_f64_f32_e32 v[10:11], v10
	v_mul_f64 v[10:11], v[10:11], s[6:7]
	v_and_or_b32 v7, v11, s10, v10
	v_cmp_ne_u32_e32 vcc, 0, v7
	v_lshrrev_b32_e32 v10, 8, v11
	v_bfe_u32 v17, v11, 20, 11
	v_cndmask_b32_e64 v7, 0, 1, vcc
	v_and_or_b32 v7, v10, s14, v7
	v_sub_u32_e32 v18, 0x3f1, v17
	v_or_b32_e32 v10, 0x1000, v7
	v_med3_i32 v18, v18, 0, 13
	v_lshrrev_b32_e32 v20, v18, v10
	v_lshlrev_b32_e32 v18, v18, v20
	v_cmp_ne_u32_e32 vcc, v18, v10
	v_add_u32_e32 v17, 0xfffffc10, v17
	v_lshl_or_b32 v18, v17, 12, v7
	v_cndmask_b32_e64 v10, 0, 1, vcc
	v_or_b32_e32 v10, v20, v10
	v_cmp_gt_i32_e32 vcc, 1, v17
	v_and_b32_sdwa v13, v11, s16 dst_sel:DWORD dst_unused:UNUSED_PAD src0_sel:WORD_1 src1_sel:DWORD
	s_nop 0
	v_cndmask_b32_e32 v10, v18, v10, vcc
	v_and_b32_e32 v18, 7, v10
	v_cmp_lt_i32_e32 vcc, 5, v18
	v_cmp_eq_u32_e64 s[0:1], 3, v18
	v_lshrrev_b32_e32 v10, 2, v10
	s_or_b64 vcc, s[0:1], vcc
	v_addc_co_u32_e32 v10, vcc, 0, v10, vcc
	v_cmp_gt_i32_e32 vcc, 31, v17
	s_nop 1
	v_cndmask_b32_e32 v10, v8, v10, vcc
	v_cmp_ne_u32_e32 vcc, 0, v7
	s_nop 1
	v_cndmask_b32_e64 v7, 0, 1, vcc
	v_lshl_or_b32 v7, v7, 9, v8
	v_cmp_eq_u32_e32 vcc, s15, v17
	s_nop 1
	v_cndmask_b32_e32 v7, v10, v7, vcc
	v_cvt_f64_f32_e32 v[10:11], v12
	v_mul_f64 v[10:11], v[10:11], s[6:7]
	v_and_or_b32 v10, v11, s10, v10
	v_cmp_ne_u32_e32 vcc, 0, v10
	v_lshrrev_b32_e32 v12, 8, v11
	v_bfe_u32 v14, v11, 20, 11
	v_cndmask_b32_e64 v10, 0, 1, vcc
	v_and_or_b32 v10, v12, s14, v10
	v_sub_u32_e32 v17, 0x3f1, v14
	v_or_b32_e32 v12, 0x1000, v10
	v_med3_i32 v17, v17, 0, 13
	v_lshrrev_b32_e32 v18, v17, v12
	v_lshlrev_b32_e32 v17, v17, v18
	v_cmp_ne_u32_e32 vcc, v17, v12
	v_add_u32_e32 v14, 0xfffffc10, v14
	v_lshl_or_b32 v17, v14, 12, v10
	v_cndmask_b32_e64 v12, 0, 1, vcc
	v_or_b32_e32 v12, v18, v12
	v_cmp_gt_i32_e32 vcc, 1, v14
	v_lshrrev_b32_e32 v11, 16, v11
	v_bitop3_b32 v7, v13, s2, v7 bitop3:0xc8
	v_cndmask_b32_e32 v12, v17, v12, vcc
	v_and_b32_e32 v17, 7, v12
	v_cmp_lt_i32_e32 vcc, 5, v17
	v_cmp_eq_u32_e64 s[0:1], 3, v17
	v_lshrrev_b32_e32 v12, 2, v12
	s_or_b64 vcc, s[0:1], vcc
	v_addc_co_u32_e32 v12, vcc, 0, v12, vcc
	v_cmp_gt_i32_e32 vcc, 31, v14
	global_load_dword v13, v16, s[12:13] offset:3136
	v_mad_u64_u32 v[4:5], s[0:1], s8, v9, v[4:5]
	v_cndmask_b32_e32 v12, v8, v12, vcc
	v_cmp_ne_u32_e32 vcc, 0, v10
	v_add_u32_e32 v5, s3, v5
	s_nop 0
	v_cndmask_b32_e64 v10, 0, 1, vcc
	v_lshl_or_b32 v10, v10, 9, v8
	v_cmp_eq_u32_e32 vcc, s15, v14
	s_nop 1
	v_cndmask_b32_e32 v10, v12, v10, vcc
	v_and_or_b32 v10, v11, s16, v10
	v_lshrrev_b32_e32 v12, 16, v15
	v_lshl_or_b32 v7, v10, 16, v7
	s_waitcnt vmcnt(6)
	v_mul_f16_sdwa v10, v12, v6 dst_sel:DWORD dst_unused:UNUSED_PAD src0_sel:DWORD src1_sel:WORD_1
	v_fma_f16 v10, v15, v6, v10
	v_cvt_f32_f16_e32 v10, v10
	global_store_dword v[4:5], v7, off
	v_mul_f16_sdwa v15, v15, v6 dst_sel:DWORD dst_unused:UNUSED_PAD src0_sel:DWORD src1_sel:WORD_1
	v_fma_f16 v6, v6, v12, -v15
	v_cvt_f64_f32_e32 v[10:11], v10
	v_mul_f64 v[10:11], v[10:11], s[6:7]
	v_and_or_b32 v7, v11, s10, v10
	v_cmp_ne_u32_e32 vcc, 0, v7
	v_lshrrev_b32_e32 v10, 8, v11
	v_bfe_u32 v14, v11, 20, 11
	v_cndmask_b32_e64 v7, 0, 1, vcc
	v_and_or_b32 v7, v10, s14, v7
	v_sub_u32_e32 v17, 0x3f1, v14
	v_or_b32_e32 v10, 0x1000, v7
	v_med3_i32 v17, v17, 0, 13
	v_lshrrev_b32_e32 v18, v17, v10
	v_lshlrev_b32_e32 v17, v17, v18
	v_cmp_ne_u32_e32 vcc, v17, v10
	v_add_u32_e32 v14, 0xfffffc10, v14
	v_lshl_or_b32 v17, v14, 12, v7
	v_cndmask_b32_e64 v10, 0, 1, vcc
	v_or_b32_e32 v10, v18, v10
	v_cmp_gt_i32_e32 vcc, 1, v14
	v_cvt_f32_f16_e32 v6, v6
	s_nop 0
	v_cndmask_b32_e32 v10, v17, v10, vcc
	v_and_b32_e32 v17, 7, v10
	v_cmp_lt_i32_e32 vcc, 5, v17
	v_cmp_eq_u32_e64 s[0:1], 3, v17
	v_lshrrev_b32_e32 v10, 2, v10
	s_or_b64 vcc, s[0:1], vcc
	v_addc_co_u32_e32 v10, vcc, 0, v10, vcc
	v_cmp_gt_i32_e32 vcc, 31, v14
	s_nop 1
	v_cndmask_b32_e32 v10, v8, v10, vcc
	v_cmp_ne_u32_e32 vcc, 0, v7
	s_nop 1
	v_cndmask_b32_e64 v7, 0, 1, vcc
	v_lshl_or_b32 v7, v7, 9, v8
	v_cmp_eq_u32_e32 vcc, s15, v14
	v_and_b32_sdwa v14, v11, s16 dst_sel:DWORD dst_unused:UNUSED_PAD src0_sel:WORD_1 src1_sel:DWORD
	s_nop 0
	v_cndmask_b32_e32 v12, v10, v7, vcc
	v_cvt_f64_f32_e32 v[6:7], v6
	v_mul_f64 v[10:11], v[6:7], s[6:7]
	v_and_or_b32 v6, v11, s10, v10
	v_cmp_ne_u32_e32 vcc, 0, v6
	v_lshrrev_b32_e32 v7, 8, v11
	v_bfe_u32 v10, v11, 20, 11
	v_cndmask_b32_e64 v6, 0, 1, vcc
	v_and_or_b32 v6, v7, s14, v6
	v_sub_u32_e32 v15, 0x3f1, v10
	v_or_b32_e32 v7, 0x1000, v6
	v_med3_i32 v15, v15, 0, 13
	v_lshrrev_b32_e32 v17, v15, v7
	v_lshlrev_b32_e32 v15, v15, v17
	v_cmp_ne_u32_e32 vcc, v15, v7
	v_add_u32_e32 v10, 0xfffffc10, v10
	v_lshl_or_b32 v15, v10, 12, v6
	v_cndmask_b32_e64 v7, 0, 1, vcc
	v_or_b32_e32 v7, v17, v7
	v_cmp_gt_i32_e32 vcc, 1, v10
	v_lshrrev_b32_e32 v11, 16, v11
	s_nop 0
	v_cndmask_b32_e32 v7, v15, v7, vcc
	v_and_b32_e32 v15, 7, v7
	v_cmp_lt_i32_e32 vcc, 5, v15
	v_cmp_eq_u32_e64 s[0:1], 3, v15
	v_lshrrev_b32_e32 v7, 2, v7
	s_or_b64 vcc, s[0:1], vcc
	v_addc_co_u32_e32 v7, vcc, 0, v7, vcc
	v_cmp_gt_i32_e32 vcc, 31, v10
	v_mad_u64_u32 v[4:5], s[0:1], s8, v9, v[4:5]
	s_nop 0
	v_cndmask_b32_e32 v7, v8, v7, vcc
	v_cmp_ne_u32_e32 vcc, 0, v6
	v_add_u32_e32 v5, s3, v5
	s_nop 0
	v_cndmask_b32_e64 v6, 0, 1, vcc
	v_lshl_or_b32 v6, v6, 9, v8
	v_cmp_eq_u32_e32 vcc, s15, v10
	s_nop 1
	v_cndmask_b32_e32 v10, v7, v6, vcc
	v_add_u32_e32 v6, 0xc00, v16
	ds_read2_b32 v[6:7], v6 offset0:16 offset1:128
	v_and_or_b32 v10, v11, s16, v10
	v_bitop3_b32 v11, v14, s2, v12 bitop3:0xc8
	global_load_dword v14, v16, s[12:13] offset:3584
	global_load_dword v15, v16, s[12:13] offset:4032
	v_lshl_or_b32 v10, v10, 16, v11
	s_waitcnt lgkmcnt(0)
	v_lshrrev_b32_e32 v12, 16, v6
	s_waitcnt vmcnt(3)
	v_mul_f16_sdwa v11, v12, v13 dst_sel:DWORD dst_unused:UNUSED_PAD src0_sel:DWORD src1_sel:WORD_1
	v_fma_f16 v11, v6, v13, v11
	v_cvt_f32_f16_e32 v11, v11
	global_store_dword v[4:5], v10, off
	v_mul_f16_sdwa v6, v6, v13 dst_sel:DWORD dst_unused:UNUSED_PAD src0_sel:DWORD src1_sel:WORD_1
	v_fma_f16 v6, v13, v12, -v6
	v_cvt_f64_f32_e32 v[10:11], v11
	v_mul_f64 v[10:11], v[10:11], s[6:7]
	v_and_or_b32 v10, v11, s10, v10
	v_cmp_ne_u32_e32 vcc, 0, v10
	v_lshrrev_b32_e32 v17, 8, v11
	v_bfe_u32 v18, v11, 20, 11
	v_cndmask_b32_e64 v10, 0, 1, vcc
	v_and_or_b32 v10, v17, s14, v10
	v_sub_u32_e32 v20, 0x3f1, v18
	v_or_b32_e32 v17, 0x1000, v10
	v_med3_i32 v20, v20, 0, 13
	v_lshrrev_b32_e32 v21, v20, v17
	v_lshlrev_b32_e32 v20, v20, v21
	v_cmp_ne_u32_e32 vcc, v20, v17
	v_add_u32_e32 v18, 0xfffffc10, v18
	v_lshl_or_b32 v20, v18, 12, v10
	v_cndmask_b32_e64 v17, 0, 1, vcc
	v_or_b32_e32 v17, v21, v17
	v_cmp_gt_i32_e32 vcc, 1, v18
	v_cvt_f32_f16_e32 v6, v6
	v_and_b32_sdwa v13, v11, s16 dst_sel:DWORD dst_unused:UNUSED_PAD src0_sel:WORD_1 src1_sel:DWORD
	v_cndmask_b32_e32 v17, v20, v17, vcc
	v_and_b32_e32 v20, 7, v17
	v_cmp_lt_i32_e32 vcc, 5, v20
	v_cmp_eq_u32_e64 s[0:1], 3, v20
	v_lshrrev_b32_e32 v17, 2, v17
	s_or_b64 vcc, s[0:1], vcc
	v_addc_co_u32_e32 v17, vcc, 0, v17, vcc
	v_cmp_gt_i32_e32 vcc, 31, v18
	s_nop 1
	v_cndmask_b32_e32 v17, v8, v17, vcc
	v_cmp_ne_u32_e32 vcc, 0, v10
	s_nop 1
	v_cndmask_b32_e64 v10, 0, 1, vcc
	v_lshl_or_b32 v10, v10, 9, v8
	v_cmp_eq_u32_e32 vcc, s15, v18
	s_nop 1
	v_cndmask_b32_e32 v12, v17, v10, vcc
	v_cvt_f64_f32_e32 v[10:11], v6
	v_mul_f64 v[10:11], v[10:11], s[6:7]
	v_and_or_b32 v6, v11, s10, v10
	v_cmp_ne_u32_e32 vcc, 0, v6
	v_lshrrev_b32_e32 v10, 8, v11
	v_bfe_u32 v17, v11, 20, 11
	v_cndmask_b32_e64 v6, 0, 1, vcc
	v_and_or_b32 v6, v10, s14, v6
	v_sub_u32_e32 v18, 0x3f1, v17
	v_or_b32_e32 v10, 0x1000, v6
	v_med3_i32 v18, v18, 0, 13
	v_lshrrev_b32_e32 v20, v18, v10
	v_lshlrev_b32_e32 v18, v18, v20
	v_cmp_ne_u32_e32 vcc, v18, v10
	v_add_u32_e32 v17, 0xfffffc10, v17
	v_lshl_or_b32 v18, v17, 12, v6
	v_cndmask_b32_e64 v10, 0, 1, vcc
	v_or_b32_e32 v10, v20, v10
	v_cmp_gt_i32_e32 vcc, 1, v17
	s_nop 1
	v_cndmask_b32_e32 v10, v18, v10, vcc
	v_and_b32_e32 v18, 7, v10
	v_cmp_lt_i32_e32 vcc, 5, v18
	v_cmp_eq_u32_e64 s[0:1], 3, v18
	v_lshrrev_b32_e32 v10, 2, v10
	s_or_b64 vcc, s[0:1], vcc
	v_addc_co_u32_e32 v10, vcc, 0, v10, vcc
	v_cmp_gt_i32_e32 vcc, 31, v17
	s_nop 1
	v_cndmask_b32_e32 v10, v8, v10, vcc
	v_cmp_ne_u32_e32 vcc, 0, v6
	s_nop 1
	v_cndmask_b32_e64 v6, 0, 1, vcc
	v_lshl_or_b32 v6, v6, 9, v8
	v_cmp_eq_u32_e32 vcc, s15, v17
	s_nop 1
	v_cndmask_b32_e32 v6, v10, v6, vcc
	v_lshrrev_b32_e32 v10, 16, v11
	v_and_or_b32 v6, v10, s16, v6
	v_bitop3_b32 v10, v13, s2, v12 bitop3:0xc8
	v_lshrrev_b32_e32 v12, 16, v7
	v_lshl_or_b32 v6, v6, 16, v10
	v_mad_u64_u32 v[10:11], s[0:1], s8, v9, v[4:5]
	s_waitcnt vmcnt(2)
	v_mul_f16_sdwa v4, v12, v14 dst_sel:DWORD dst_unused:UNUSED_PAD src0_sel:DWORD src1_sel:WORD_1
	v_fma_f16 v4, v7, v14, v4
	v_cvt_f32_f16_e32 v4, v4
	v_add_u32_e32 v11, s3, v11
	global_store_dword v[10:11], v6, off
	v_or_b32_e32 v13, 0x380, v19
	v_cvt_f64_f32_e32 v[4:5], v4
	v_mul_f64 v[4:5], v[4:5], s[6:7]
	v_and_or_b32 v4, v5, s10, v4
	v_cmp_ne_u32_e32 vcc, 0, v4
	v_lshrrev_b32_e32 v6, 8, v5
	v_bfe_u32 v17, v5, 20, 11
	v_cndmask_b32_e64 v4, 0, 1, vcc
	v_and_or_b32 v4, v6, s14, v4
	v_sub_u32_e32 v18, 0x3f1, v17
	v_or_b32_e32 v6, 0x1000, v4
	v_med3_i32 v18, v18, 0, 13
	v_lshrrev_b32_e32 v19, v18, v6
	v_lshlrev_b32_e32 v18, v18, v19
	v_cmp_ne_u32_e32 vcc, v18, v6
	v_add_u32_e32 v17, 0xfffffc10, v17
	v_lshl_or_b32 v18, v17, 12, v4
	v_cndmask_b32_e64 v6, 0, 1, vcc
	v_or_b32_e32 v6, v19, v6
	v_cmp_gt_i32_e32 vcc, 1, v17
	v_mul_f16_sdwa v7, v7, v14 dst_sel:DWORD dst_unused:UNUSED_PAD src0_sel:DWORD src1_sel:WORD_1
	v_fma_f16 v7, v14, v12, -v7
	v_cndmask_b32_e32 v6, v18, v6, vcc
	v_and_b32_e32 v18, 7, v6
	v_cmp_lt_i32_e32 vcc, 5, v18
	v_cmp_eq_u32_e64 s[0:1], 3, v18
	v_lshrrev_b32_e32 v6, 2, v6
	s_or_b64 vcc, s[0:1], vcc
	v_addc_co_u32_e32 v6, vcc, 0, v6, vcc
	v_cmp_gt_i32_e32 vcc, 31, v17
	v_cvt_f32_f16_e32 v7, v7
	s_nop 0
	v_cndmask_b32_e32 v6, v8, v6, vcc
	v_cmp_ne_u32_e32 vcc, 0, v4
	s_nop 1
	v_cndmask_b32_e64 v4, 0, 1, vcc
	v_lshl_or_b32 v4, v4, 9, v8
	v_cmp_eq_u32_e32 vcc, s15, v17
	v_and_b32_sdwa v17, v5, s16 dst_sel:DWORD dst_unused:UNUSED_PAD src0_sel:WORD_1 src1_sel:DWORD
	s_nop 0
	v_cndmask_b32_e32 v14, v6, v4, vcc
	v_cvt_f64_f32_e32 v[4:5], v7
	v_mul_f64 v[4:5], v[4:5], s[6:7]
	v_and_or_b32 v4, v5, s10, v4
	v_cmp_ne_u32_e32 vcc, 0, v4
	v_lshrrev_b32_e32 v6, 8, v5
	v_bfe_u32 v7, v5, 20, 11
	v_cndmask_b32_e64 v4, 0, 1, vcc
	v_and_or_b32 v4, v6, s14, v4
	v_sub_u32_e32 v12, 0x3f1, v7
	v_or_b32_e32 v6, 0x1000, v4
	v_med3_i32 v12, v12, 0, 13
	v_lshrrev_b32_e32 v18, v12, v6
	v_lshlrev_b32_e32 v12, v12, v18
	v_cmp_ne_u32_e32 vcc, v12, v6
	v_add_u32_e32 v7, 0xfffffc10, v7
	v_lshl_or_b32 v12, v7, 12, v4
	v_cndmask_b32_e64 v6, 0, 1, vcc
	v_or_b32_e32 v6, v18, v6
	v_cmp_gt_i32_e32 vcc, 1, v7
	v_lshrrev_b32_e32 v5, 16, v5
	s_nop 0
	v_cndmask_b32_e32 v6, v12, v6, vcc
	v_and_b32_e32 v12, 7, v6
	v_cmp_lt_i32_e32 vcc, 5, v12
	v_cmp_eq_u32_e64 s[0:1], 3, v12
	v_lshrrev_b32_e32 v6, 2, v6
	s_or_b64 vcc, s[0:1], vcc
	v_addc_co_u32_e32 v6, vcc, 0, v6, vcc
	v_cmp_gt_i32_e32 vcc, 31, v7
	s_nop 1
	v_cndmask_b32_e32 v6, v8, v6, vcc
	v_cmp_ne_u32_e32 vcc, 0, v4
	s_nop 1
	v_cndmask_b32_e64 v4, 0, 1, vcc
	v_lshl_or_b32 v4, v4, 9, v8
	v_cmp_eq_u32_e32 vcc, s15, v7
	s_nop 1
	v_cndmask_b32_e32 v4, v6, v4, vcc
	v_mad_u64_u32 v[6:7], s[0:1], s8, v13, 0
	v_mov_b32_e32 v12, v7
	v_mad_u64_u32 v[12:13], s[0:1], s9, v13, v[12:13]
	v_mov_b32_e32 v7, v12
	v_and_or_b32 v18, v5, s16, v4
	v_add_u32_e32 v4, 0xe00, v16
	v_bitop3_b32 v12, v17, s2, v14 bitop3:0xc8
	v_lshl_add_u64 v[2:3], v[6:7], 2, v[2:3]
	v_add_co_u32_e32 v6, vcc, s17, v0
	ds_read2_b32 v[4:5], v4 offset0:112 offset1:224
	v_lshl_or_b32 v12, v18, 16, v12
	v_addc_co_u32_e32 v7, vcc, 0, v1, vcc
	global_store_dword v[2:3], v12, off
	global_load_dword v12, v[6:7], off offset:384
	s_waitcnt lgkmcnt(0)
	v_lshrrev_b32_e32 v13, 16, v4
	s_waitcnt vmcnt(4)
	v_mul_f16_sdwa v14, v13, v15 dst_sel:DWORD dst_unused:UNUSED_PAD src0_sel:DWORD src1_sel:WORD_1
	v_fma_f16 v14, v4, v15, v14
	v_cvt_f32_f16_e32 v14, v14
	v_mul_f16_sdwa v4, v4, v15 dst_sel:DWORD dst_unused:UNUSED_PAD src0_sel:DWORD src1_sel:WORD_1
	v_fma_f16 v4, v15, v13, -v4
	v_cvt_f32_f16_e32 v4, v4
	v_cvt_f64_f32_e32 v[2:3], v14
	v_mul_f64 v[2:3], v[2:3], s[6:7]
	v_and_or_b32 v2, v3, s10, v2
	v_cmp_ne_u32_e32 vcc, 0, v2
	v_lshrrev_b32_e32 v1, 8, v3
	v_bfe_u32 v2, v3, 20, 11
	v_cndmask_b32_e64 v0, 0, 1, vcc
	v_and_or_b32 v0, v1, s14, v0
	v_sub_u32_e32 v14, 0x3f1, v2
	v_or_b32_e32 v1, 0x1000, v0
	v_med3_i32 v14, v14, 0, 13
	v_lshrrev_b32_e32 v17, v14, v1
	v_lshlrev_b32_e32 v14, v14, v17
	v_cmp_ne_u32_e32 vcc, v14, v1
	v_add_u32_e32 v2, 0xfffffc10, v2
	v_lshl_or_b32 v14, v2, 12, v0
	v_cndmask_b32_e64 v1, 0, 1, vcc
	v_or_b32_e32 v1, v17, v1
	v_cmp_gt_i32_e32 vcc, 1, v2
	v_and_b32_sdwa v3, v3, s16 dst_sel:DWORD dst_unused:UNUSED_PAD src0_sel:WORD_1 src1_sel:DWORD
	s_nop 0
	v_cndmask_b32_e32 v1, v14, v1, vcc
	v_and_b32_e32 v14, 7, v1
	v_cmp_lt_i32_e32 vcc, 5, v14
	v_cmp_eq_u32_e64 s[0:1], 3, v14
	v_lshrrev_b32_e32 v1, 2, v1
	s_or_b64 vcc, s[0:1], vcc
	v_addc_co_u32_e32 v1, vcc, 0, v1, vcc
	v_cmp_gt_i32_e32 vcc, 31, v2
	s_nop 1
	v_cndmask_b32_e32 v1, v8, v1, vcc
	v_cmp_ne_u32_e32 vcc, 0, v0
	s_nop 1
	v_cndmask_b32_e64 v0, 0, 1, vcc
	v_lshl_or_b32 v0, v0, 9, v8
	v_cmp_eq_u32_e32 vcc, s15, v2
	s_nop 1
	v_cndmask_b32_e32 v2, v1, v0, vcc
	v_cvt_f64_f32_e32 v[0:1], v4
	v_mul_f64 v[0:1], v[0:1], s[6:7]
	v_and_or_b32 v0, v1, s10, v0
	v_cmp_ne_u32_e32 vcc, 0, v0
	v_lshrrev_b32_e32 v4, 8, v1
	v_bfe_u32 v13, v1, 20, 11
	v_cndmask_b32_e64 v0, 0, 1, vcc
	v_and_or_b32 v0, v4, s14, v0
	v_sub_u32_e32 v14, 0x3f1, v13
	v_or_b32_e32 v4, 0x1000, v0
	v_med3_i32 v14, v14, 0, 13
	v_lshrrev_b32_e32 v15, v14, v4
	v_lshlrev_b32_e32 v14, v14, v15
	v_cmp_ne_u32_e32 vcc, v14, v4
	v_add_u32_e32 v13, 0xfffffc10, v13
	v_lshl_or_b32 v14, v13, 12, v0
	v_cndmask_b32_e64 v4, 0, 1, vcc
	v_or_b32_e32 v4, v15, v4
	v_cmp_gt_i32_e32 vcc, 1, v13
	v_lshrrev_b32_e32 v1, 16, v1
	s_nop 0
	v_cndmask_b32_e32 v4, v14, v4, vcc
	v_and_b32_e32 v14, 7, v4
	v_cmp_lt_i32_e32 vcc, 5, v14
	v_cmp_eq_u32_e64 s[0:1], 3, v14
	v_lshrrev_b32_e32 v4, 2, v4
	s_or_b64 vcc, s[0:1], vcc
	v_addc_co_u32_e32 v4, vcc, 0, v4, vcc
	v_cmp_gt_i32_e32 vcc, 31, v13
	s_nop 1
	v_cndmask_b32_e32 v4, v8, v4, vcc
	v_cmp_ne_u32_e32 vcc, 0, v0
	s_nop 1
	v_cndmask_b32_e64 v0, 0, 1, vcc
	v_lshl_or_b32 v0, v0, 9, v8
	v_cmp_eq_u32_e32 vcc, s15, v13
	s_nop 1
	v_cndmask_b32_e32 v0, v4, v0, vcc
	v_and_or_b32 v0, v1, s16, v0
	v_bitop3_b32 v1, v3, s2, v2 bitop3:0xc8
	v_lshl_or_b32 v2, v0, 16, v1
	v_mov_b32_e32 v0, 0x380
	v_mad_u64_u32 v[0:1], s[0:1], s8, v0, v[10:11]
	global_load_dword v10, v[6:7], off offset:832
	global_load_dword v11, v[6:7], off offset:1280
	v_lshrrev_b32_e32 v4, 16, v5
	s_waitcnt vmcnt(2)
	v_mul_f16_sdwa v3, v4, v12 dst_sel:DWORD dst_unused:UNUSED_PAD src0_sel:DWORD src1_sel:WORD_1
	v_fma_f16 v3, v5, v12, v3
	v_cvt_f32_f16_e32 v3, v3
	s_mul_i32 s0, s9, 0x380
	v_add_u32_e32 v1, s0, v1
	global_store_dword v[0:1], v2, off
	v_cvt_f64_f32_e32 v[2:3], v3
	v_mul_f64 v[2:3], v[2:3], s[6:7]
	v_and_or_b32 v2, v3, s10, v2
	v_cmp_ne_u32_e32 vcc, 0, v2
	v_lshrrev_b32_e32 v6, 8, v3
	v_bfe_u32 v7, v3, 20, 11
	v_cndmask_b32_e64 v2, 0, 1, vcc
	v_and_or_b32 v2, v6, s14, v2
	v_sub_u32_e32 v13, 0x3f1, v7
	v_or_b32_e32 v6, 0x1000, v2
	v_med3_i32 v13, v13, 0, 13
	v_lshrrev_b32_e32 v14, v13, v6
	v_lshlrev_b32_e32 v13, v13, v14
	v_cmp_ne_u32_e32 vcc, v13, v6
	v_add_u32_e32 v7, 0xfffffc10, v7
	v_lshl_or_b32 v13, v7, 12, v2
	v_cndmask_b32_e64 v6, 0, 1, vcc
	v_or_b32_e32 v6, v14, v6
	v_cmp_gt_i32_e32 vcc, 1, v7
	v_mul_f16_sdwa v5, v5, v12 dst_sel:DWORD dst_unused:UNUSED_PAD src0_sel:DWORD src1_sel:WORD_1
	v_fma_f16 v4, v12, v4, -v5
	v_cndmask_b32_e32 v6, v13, v6, vcc
	v_and_b32_e32 v13, 7, v6
	v_cmp_lt_i32_e32 vcc, 5, v13
	v_cmp_eq_u32_e64 s[0:1], 3, v13
	v_lshrrev_b32_e32 v6, 2, v6
	s_or_b64 vcc, s[0:1], vcc
	v_addc_co_u32_e32 v6, vcc, 0, v6, vcc
	v_cmp_gt_i32_e32 vcc, 31, v7
	v_cvt_f32_f16_e32 v4, v4
	s_nop 0
	v_cndmask_b32_e32 v6, v8, v6, vcc
	v_cmp_ne_u32_e32 vcc, 0, v2
	s_nop 1
	v_cndmask_b32_e64 v2, 0, 1, vcc
	v_lshl_or_b32 v2, v2, 9, v8
	v_cmp_eq_u32_e32 vcc, s15, v7
	v_and_b32_sdwa v7, v3, s16 dst_sel:DWORD dst_unused:UNUSED_PAD src0_sel:WORD_1 src1_sel:DWORD
	s_nop 0
	v_cndmask_b32_e32 v6, v6, v2, vcc
	v_cvt_f64_f32_e32 v[2:3], v4
	v_mul_f64 v[2:3], v[2:3], s[6:7]
	v_and_or_b32 v2, v3, s10, v2
	v_cmp_ne_u32_e32 vcc, 0, v2
	v_lshrrev_b32_e32 v4, 8, v3
	v_bfe_u32 v5, v3, 20, 11
	v_cndmask_b32_e64 v2, 0, 1, vcc
	v_and_or_b32 v2, v4, s14, v2
	v_sub_u32_e32 v12, 0x3f1, v5
	v_or_b32_e32 v4, 0x1000, v2
	v_med3_i32 v12, v12, 0, 13
	v_lshrrev_b32_e32 v13, v12, v4
	v_lshlrev_b32_e32 v12, v12, v13
	v_cmp_ne_u32_e32 vcc, v12, v4
	v_add_u32_e32 v5, 0xfffffc10, v5
	v_lshl_or_b32 v12, v5, 12, v2
	v_cndmask_b32_e64 v4, 0, 1, vcc
	v_or_b32_e32 v4, v13, v4
	v_cmp_gt_i32_e32 vcc, 1, v5
	v_lshrrev_b32_e32 v3, 16, v3
	s_nop 0
	v_cndmask_b32_e32 v4, v12, v4, vcc
	v_and_b32_e32 v12, 7, v4
	v_cmp_lt_i32_e32 vcc, 5, v12
	v_cmp_eq_u32_e64 s[0:1], 3, v12
	v_lshrrev_b32_e32 v4, 2, v4
	s_or_b64 vcc, s[0:1], vcc
	v_addc_co_u32_e32 v4, vcc, 0, v4, vcc
	v_cmp_gt_i32_e32 vcc, 31, v5
	v_mad_u64_u32 v[0:1], s[0:1], s8, v9, v[0:1]
	s_nop 0
	v_cndmask_b32_e32 v4, v8, v4, vcc
	v_cmp_ne_u32_e32 vcc, 0, v2
	v_add_u32_e32 v1, s3, v1
	s_nop 0
	v_cndmask_b32_e64 v2, 0, 1, vcc
	v_lshl_or_b32 v2, v2, 9, v8
	v_cmp_eq_u32_e32 vcc, s15, v5
	s_nop 1
	v_cndmask_b32_e32 v2, v4, v2, vcc
	v_add_u32_e32 v4, 0x1200, v16
	ds_read2_b32 v[4:5], v4 offset0:80 offset1:192
	v_and_or_b32 v2, v3, s16, v2
	v_bitop3_b32 v3, v7, s2, v6 bitop3:0xc8
	v_lshl_or_b32 v2, v2, 16, v3
	global_store_dword v[0:1], v2, off
	s_waitcnt lgkmcnt(0)
	v_lshrrev_b32_e32 v6, 16, v4
	s_waitcnt vmcnt(3)
	v_mul_f16_sdwa v3, v6, v10 dst_sel:DWORD dst_unused:UNUSED_PAD src0_sel:DWORD src1_sel:WORD_1
	v_fma_f16 v3, v4, v10, v3
	v_cvt_f32_f16_e32 v3, v3
	v_mul_f16_sdwa v4, v4, v10 dst_sel:DWORD dst_unused:UNUSED_PAD src0_sel:DWORD src1_sel:WORD_1
	v_fma_f16 v4, v10, v6, -v4
	v_cvt_f32_f16_e32 v4, v4
	v_cvt_f64_f32_e32 v[2:3], v3
	v_mul_f64 v[2:3], v[2:3], s[6:7]
	v_and_or_b32 v2, v3, s10, v2
	v_cmp_ne_u32_e32 vcc, 0, v2
	v_lshrrev_b32_e32 v7, 8, v3
	v_bfe_u32 v12, v3, 20, 11
	v_cndmask_b32_e64 v2, 0, 1, vcc
	v_and_or_b32 v2, v7, s14, v2
	v_sub_u32_e32 v13, 0x3f1, v12
	v_or_b32_e32 v7, 0x1000, v2
	v_med3_i32 v13, v13, 0, 13
	v_lshrrev_b32_e32 v14, v13, v7
	v_lshlrev_b32_e32 v13, v13, v14
	v_cmp_ne_u32_e32 vcc, v13, v7
	v_add_u32_e32 v12, 0xfffffc10, v12
	v_lshl_or_b32 v13, v12, 12, v2
	v_cndmask_b32_e64 v7, 0, 1, vcc
	v_or_b32_e32 v7, v14, v7
	v_cmp_gt_i32_e32 vcc, 1, v12
	s_nop 1
	v_cndmask_b32_e32 v7, v13, v7, vcc
	v_and_b32_e32 v13, 7, v7
	v_cmp_lt_i32_e32 vcc, 5, v13
	v_cmp_eq_u32_e64 s[0:1], 3, v13
	v_lshrrev_b32_e32 v7, 2, v7
	s_or_b64 vcc, s[0:1], vcc
	v_addc_co_u32_e32 v7, vcc, 0, v7, vcc
	v_cmp_gt_i32_e32 vcc, 31, v12
	s_nop 1
	v_cndmask_b32_e32 v7, v8, v7, vcc
	v_cmp_ne_u32_e32 vcc, 0, v2
	s_nop 1
	v_cndmask_b32_e64 v2, 0, 1, vcc
	v_lshl_or_b32 v2, v2, 9, v8
	v_cmp_eq_u32_e32 vcc, s15, v12
	s_nop 1
	v_cndmask_b32_e32 v6, v7, v2, vcc
	v_and_b32_sdwa v7, v3, s16 dst_sel:DWORD dst_unused:UNUSED_PAD src0_sel:WORD_1 src1_sel:DWORD
	v_cvt_f64_f32_e32 v[2:3], v4
	v_mul_f64 v[2:3], v[2:3], s[6:7]
	v_and_or_b32 v2, v3, s10, v2
	v_cmp_ne_u32_e32 vcc, 0, v2
	v_lshrrev_b32_e32 v4, 8, v3
	v_bfe_u32 v10, v3, 20, 11
	v_cndmask_b32_e64 v2, 0, 1, vcc
	v_and_or_b32 v2, v4, s14, v2
	v_sub_u32_e32 v12, 0x3f1, v10
	v_or_b32_e32 v4, 0x1000, v2
	v_med3_i32 v12, v12, 0, 13
	v_lshrrev_b32_e32 v13, v12, v4
	v_lshlrev_b32_e32 v12, v12, v13
	v_cmp_ne_u32_e32 vcc, v12, v4
	v_add_u32_e32 v10, 0xfffffc10, v10
	v_lshl_or_b32 v12, v10, 12, v2
	v_cndmask_b32_e64 v4, 0, 1, vcc
	v_or_b32_e32 v4, v13, v4
	v_cmp_gt_i32_e32 vcc, 1, v10
	v_lshrrev_b32_e32 v3, 16, v3
	s_nop 0
	v_cndmask_b32_e32 v4, v12, v4, vcc
	v_and_b32_e32 v12, 7, v4
	v_cmp_lt_i32_e32 vcc, 5, v12
	v_cmp_eq_u32_e64 s[0:1], 3, v12
	v_lshrrev_b32_e32 v4, 2, v4
	s_or_b64 vcc, s[0:1], vcc
	v_addc_co_u32_e32 v4, vcc, 0, v4, vcc
	v_cmp_gt_i32_e32 vcc, 31, v10
	v_mad_u64_u32 v[0:1], s[0:1], s8, v9, v[0:1]
	s_nop 0
	v_cndmask_b32_e32 v4, v8, v4, vcc
	v_cmp_ne_u32_e32 vcc, 0, v2
	v_add_u32_e32 v1, s3, v1
	s_nop 0
	v_cndmask_b32_e64 v2, 0, 1, vcc
	v_lshl_or_b32 v2, v2, 9, v8
	v_cmp_eq_u32_e32 vcc, s15, v10
	s_nop 1
	v_cndmask_b32_e32 v2, v4, v2, vcc
	v_and_or_b32 v2, v3, s16, v2
	v_bitop3_b32 v3, v7, s2, v6 bitop3:0xc8
	v_lshrrev_b32_e32 v4, 16, v5
	v_lshl_or_b32 v2, v2, 16, v3
	s_waitcnt vmcnt(2)
	v_mul_f16_sdwa v3, v4, v11 dst_sel:DWORD dst_unused:UNUSED_PAD src0_sel:DWORD src1_sel:WORD_1
	v_fma_f16 v3, v5, v11, v3
	v_cvt_f32_f16_e32 v3, v3
	global_store_dword v[0:1], v2, off
	v_mul_f16_sdwa v5, v5, v11 dst_sel:DWORD dst_unused:UNUSED_PAD src0_sel:DWORD src1_sel:WORD_1
	v_fma_f16 v4, v11, v4, -v5
	v_cvt_f64_f32_e32 v[2:3], v3
	v_mul_f64 v[2:3], v[2:3], s[6:7]
	v_and_or_b32 v2, v3, s10, v2
	v_cmp_ne_u32_e32 vcc, 0, v2
	v_lshrrev_b32_e32 v6, 8, v3
	v_bfe_u32 v7, v3, 20, 11
	v_cndmask_b32_e64 v2, 0, 1, vcc
	v_and_or_b32 v2, v6, s14, v2
	v_sub_u32_e32 v10, 0x3f1, v7
	v_or_b32_e32 v6, 0x1000, v2
	v_med3_i32 v10, v10, 0, 13
	v_lshrrev_b32_e32 v12, v10, v6
	v_lshlrev_b32_e32 v10, v10, v12
	v_cmp_ne_u32_e32 vcc, v10, v6
	v_add_u32_e32 v7, 0xfffffc10, v7
	v_lshl_or_b32 v10, v7, 12, v2
	v_cndmask_b32_e64 v6, 0, 1, vcc
	v_or_b32_e32 v6, v12, v6
	v_cmp_gt_i32_e32 vcc, 1, v7
	v_cvt_f32_f16_e32 v4, v4
	s_nop 0
	v_cndmask_b32_e32 v6, v10, v6, vcc
	v_and_b32_e32 v10, 7, v6
	v_cmp_lt_i32_e32 vcc, 5, v10
	v_cmp_eq_u32_e64 s[0:1], 3, v10
	v_lshrrev_b32_e32 v6, 2, v6
	s_or_b64 vcc, s[0:1], vcc
	v_addc_co_u32_e32 v6, vcc, 0, v6, vcc
	v_cmp_gt_i32_e32 vcc, 31, v7
	s_nop 1
	v_cndmask_b32_e32 v6, v8, v6, vcc
	v_cmp_ne_u32_e32 vcc, 0, v2
	s_nop 1
	v_cndmask_b32_e64 v2, 0, 1, vcc
	v_lshl_or_b32 v2, v2, 9, v8
	v_cmp_eq_u32_e32 vcc, s15, v7
	s_nop 1
	v_cndmask_b32_e32 v5, v6, v2, vcc
	v_and_b32_sdwa v6, v3, s16 dst_sel:DWORD dst_unused:UNUSED_PAD src0_sel:WORD_1 src1_sel:DWORD
	v_cvt_f64_f32_e32 v[2:3], v4
	v_mul_f64 v[2:3], v[2:3], s[6:7]
	v_and_or_b32 v2, v3, s10, v2
	v_cmp_ne_u32_e32 vcc, 0, v2
	v_lshrrev_b32_e32 v4, 8, v3
	v_bfe_u32 v7, v3, 20, 11
	v_cndmask_b32_e64 v2, 0, 1, vcc
	v_and_or_b32 v2, v4, s14, v2
	v_sub_u32_e32 v10, 0x3f1, v7
	v_or_b32_e32 v4, 0x1000, v2
	v_med3_i32 v10, v10, 0, 13
	v_lshrrev_b32_e32 v11, v10, v4
	v_lshlrev_b32_e32 v10, v10, v11
	v_cmp_ne_u32_e32 vcc, v10, v4
	v_add_u32_e32 v7, 0xfffffc10, v7
	v_lshl_or_b32 v10, v7, 12, v2
	v_cndmask_b32_e64 v4, 0, 1, vcc
	v_or_b32_e32 v4, v11, v4
	v_cmp_gt_i32_e32 vcc, 1, v7
	v_lshrrev_b32_e32 v3, 16, v3
	s_nop 0
	v_cndmask_b32_e32 v4, v10, v4, vcc
	v_and_b32_e32 v10, 7, v4
	v_cmp_lt_i32_e32 vcc, 5, v10
	v_cmp_eq_u32_e64 s[0:1], 3, v10
	v_lshrrev_b32_e32 v4, 2, v4
	s_or_b64 vcc, s[0:1], vcc
	v_addc_co_u32_e32 v4, vcc, 0, v4, vcc
	v_cmp_gt_i32_e32 vcc, 31, v7
	v_mad_u64_u32 v[0:1], s[0:1], s8, v9, v[0:1]
	s_nop 0
	v_cndmask_b32_e32 v4, v8, v4, vcc
	v_cmp_ne_u32_e32 vcc, 0, v2
	v_add_u32_e32 v1, s3, v1
	s_nop 0
	v_cndmask_b32_e64 v2, 0, 1, vcc
	v_lshl_or_b32 v2, v2, 9, v8
	v_cmp_eq_u32_e32 vcc, s15, v7
	s_nop 1
	v_cndmask_b32_e32 v2, v4, v2, vcc
	v_and_or_b32 v2, v3, s16, v2
	v_bitop3_b32 v3, v6, s2, v5 bitop3:0xc8
	v_lshl_or_b32 v2, v2, 16, v3
	global_store_dword v[0:1], v2, off
.LBB0_23:
	s_endpgm
	.section	.rodata,"a",@progbits
	.p2align	6, 0x0
	.amdhsa_kernel bluestein_single_back_len1456_dim1_half_op_CI_CI
		.amdhsa_group_segment_fixed_size 5824
		.amdhsa_private_segment_fixed_size 0
		.amdhsa_kernarg_size 104
		.amdhsa_user_sgpr_count 2
		.amdhsa_user_sgpr_dispatch_ptr 0
		.amdhsa_user_sgpr_queue_ptr 0
		.amdhsa_user_sgpr_kernarg_segment_ptr 1
		.amdhsa_user_sgpr_dispatch_id 0
		.amdhsa_user_sgpr_kernarg_preload_length 0
		.amdhsa_user_sgpr_kernarg_preload_offset 0
		.amdhsa_user_sgpr_private_segment_size 0
		.amdhsa_uses_dynamic_stack 0
		.amdhsa_enable_private_segment 0
		.amdhsa_system_sgpr_workgroup_id_x 1
		.amdhsa_system_sgpr_workgroup_id_y 0
		.amdhsa_system_sgpr_workgroup_id_z 0
		.amdhsa_system_sgpr_workgroup_info 0
		.amdhsa_system_vgpr_workitem_id 0
		.amdhsa_next_free_vgpr 189
		.amdhsa_next_free_sgpr 30
		.amdhsa_accum_offset 192
		.amdhsa_reserve_vcc 1
		.amdhsa_float_round_mode_32 0
		.amdhsa_float_round_mode_16_64 0
		.amdhsa_float_denorm_mode_32 3
		.amdhsa_float_denorm_mode_16_64 3
		.amdhsa_dx10_clamp 1
		.amdhsa_ieee_mode 1
		.amdhsa_fp16_overflow 0
		.amdhsa_tg_split 0
		.amdhsa_exception_fp_ieee_invalid_op 0
		.amdhsa_exception_fp_denorm_src 0
		.amdhsa_exception_fp_ieee_div_zero 0
		.amdhsa_exception_fp_ieee_overflow 0
		.amdhsa_exception_fp_ieee_underflow 0
		.amdhsa_exception_fp_ieee_inexact 0
		.amdhsa_exception_int_div_zero 0
	.end_amdhsa_kernel
	.text
.Lfunc_end0:
	.size	bluestein_single_back_len1456_dim1_half_op_CI_CI, .Lfunc_end0-bluestein_single_back_len1456_dim1_half_op_CI_CI
                                        ; -- End function
	.section	.AMDGPU.csdata,"",@progbits
; Kernel info:
; codeLenInByte = 22584
; NumSgprs: 36
; NumVgprs: 189
; NumAgprs: 0
; TotalNumVgprs: 189
; ScratchSize: 0
; MemoryBound: 0
; FloatMode: 240
; IeeeMode: 1
; LDSByteSize: 5824 bytes/workgroup (compile time only)
; SGPRBlocks: 4
; VGPRBlocks: 23
; NumSGPRsForWavesPerEU: 36
; NumVGPRsForWavesPerEU: 189
; AccumOffset: 192
; Occupancy: 2
; WaveLimiterHint : 1
; COMPUTE_PGM_RSRC2:SCRATCH_EN: 0
; COMPUTE_PGM_RSRC2:USER_SGPR: 2
; COMPUTE_PGM_RSRC2:TRAP_HANDLER: 0
; COMPUTE_PGM_RSRC2:TGID_X_EN: 1
; COMPUTE_PGM_RSRC2:TGID_Y_EN: 0
; COMPUTE_PGM_RSRC2:TGID_Z_EN: 0
; COMPUTE_PGM_RSRC2:TIDIG_COMP_CNT: 0
; COMPUTE_PGM_RSRC3_GFX90A:ACCUM_OFFSET: 47
; COMPUTE_PGM_RSRC3_GFX90A:TG_SPLIT: 0
	.text
	.p2alignl 6, 3212836864
	.fill 256, 4, 3212836864
	.type	__hip_cuid_acd4cbe038cd8b9,@object ; @__hip_cuid_acd4cbe038cd8b9
	.section	.bss,"aw",@nobits
	.globl	__hip_cuid_acd4cbe038cd8b9
__hip_cuid_acd4cbe038cd8b9:
	.byte	0                               ; 0x0
	.size	__hip_cuid_acd4cbe038cd8b9, 1

	.ident	"AMD clang version 19.0.0git (https://github.com/RadeonOpenCompute/llvm-project roc-6.4.0 25133 c7fe45cf4b819c5991fe208aaa96edf142730f1d)"
	.section	".note.GNU-stack","",@progbits
	.addrsig
	.addrsig_sym __hip_cuid_acd4cbe038cd8b9
	.amdgpu_metadata
---
amdhsa.kernels:
  - .agpr_count:     0
    .args:
      - .actual_access:  read_only
        .address_space:  global
        .offset:         0
        .size:           8
        .value_kind:     global_buffer
      - .actual_access:  read_only
        .address_space:  global
        .offset:         8
        .size:           8
        .value_kind:     global_buffer
      - .actual_access:  read_only
        .address_space:  global
        .offset:         16
        .size:           8
        .value_kind:     global_buffer
      - .actual_access:  read_only
        .address_space:  global
        .offset:         24
        .size:           8
        .value_kind:     global_buffer
      - .actual_access:  read_only
        .address_space:  global
        .offset:         32
        .size:           8
        .value_kind:     global_buffer
      - .offset:         40
        .size:           8
        .value_kind:     by_value
      - .address_space:  global
        .offset:         48
        .size:           8
        .value_kind:     global_buffer
      - .address_space:  global
        .offset:         56
        .size:           8
        .value_kind:     global_buffer
      - .address_space:  global
        .offset:         64
        .size:           8
        .value_kind:     global_buffer
      - .address_space:  global
        .offset:         72
        .size:           8
        .value_kind:     global_buffer
      - .offset:         80
        .size:           4
        .value_kind:     by_value
      - .address_space:  global
        .offset:         88
        .size:           8
        .value_kind:     global_buffer
      - .address_space:  global
        .offset:         96
        .size:           8
        .value_kind:     global_buffer
    .group_segment_fixed_size: 5824
    .kernarg_segment_align: 8
    .kernarg_segment_size: 104
    .language:       OpenCL C
    .language_version:
      - 2
      - 0
    .max_flat_workgroup_size: 182
    .name:           bluestein_single_back_len1456_dim1_half_op_CI_CI
    .private_segment_fixed_size: 0
    .sgpr_count:     36
    .sgpr_spill_count: 0
    .symbol:         bluestein_single_back_len1456_dim1_half_op_CI_CI.kd
    .uniform_work_group_size: 1
    .uses_dynamic_stack: false
    .vgpr_count:     189
    .vgpr_spill_count: 0
    .wavefront_size: 64
amdhsa.target:   amdgcn-amd-amdhsa--gfx950
amdhsa.version:
  - 1
  - 2
...

	.end_amdgpu_metadata
